;; amdgpu-corpus repo=ROCm/aiter kind=harvested arch=n/a opt=n/a

/root/src/amdgpu-assembly/repos/ROCm__aiter/hsa/gfx950/fmha_v3_bwd/bwd_hd64_fp16_causal_br_a32_pssk_group.co:	file format elf64-amdgpu

Disassembly of section .text:

0000000000004000 <_ZN5aiter53fmha_bwd_hd64_fp16_causal_br_a32_pssk_group_recompileE>:
	s_and_b32 s1, s1, 0xffff                                   // 000000004000: 8601FF01 0000FFFF
	s_load_dwordx2 s[32:33], s[0:1], 0x0                       // 000000004008: C0060800 00000000
	s_load_dwordx2 s[36:37], s[0:1], 0x10                      // 000000004010: C0060900 00000010
	s_load_dwordx2 s[40:41], s[0:1], 0x20                      // 000000004018: C0060A00 00000020
	s_load_dwordx2 s[8:9], s[0:1], 0x30                        // 000000004020: C0060200 00000030
	s_load_dwordx2 s[12:13], s[0:1], 0x40                      // 000000004028: C0060300 00000040
	s_load_dwordx2 s[16:17], s[0:1], 0x50                      // 000000004030: C0060400 00000050
	s_load_dwordx2 s[20:21], s[0:1], 0x60                      // 000000004038: C0060500 00000060
	s_load_dwordx2 s[24:25], s[0:1], 0x70                      // 000000004040: C0060600 00000070
	s_load_dwordx2 s[28:29], s[0:1], 0x80                      // 000000004048: C0060700 00000080
	s_load_dword s47, s[0:1], 0x90                             // 000000004050: C0020BC0 00000090
	s_load_dword s48, s[0:1], 0xa0                             // 000000004058: C0020C00 000000A0
	s_load_dword s78, s[0:1], 0xd0                             // 000000004060: C0021380 000000D0
	s_load_dword s5, s[0:1], 0xf0                              // 000000004068: C0020140 000000F0
	s_load_dword s44, s[0:1], 0x100                            // 000000004070: C0020B00 00000100
	s_load_dword s79, s[0:1], 0x110                            // 000000004078: C00213C0 00000110
	s_load_dword s6, s[0:1], 0x130                             // 000000004080: C0020180 00000130
	s_load_dword s52, s[0:1], 0x140                            // 000000004088: C0020D00 00000140
	s_load_dword s50, s[0:1], 0x150                            // 000000004090: C0020C80 00000150
	s_load_dword s80, s[0:1], 0x190                            // 000000004098: C0021400 00000190
	s_load_dword s7, s[0:1], 0x1b0                             // 0000000040A0: C00201C0 000001B0
	s_load_dword s81, s[0:1], 0x1c0                            // 0000000040A8: C0021440 000001C0
	s_load_dword s51, s[0:1], 0x1e0                            // 0000000040B0: C0020CC0 000001E0
	s_load_dword s82, s[0:1], 0x1f0                            // 0000000040B8: C0021480 000001F0
	s_load_dword s83, s[0:1], 0x210                            // 0000000040C0: C00214C0 00000210
	s_load_dword s53, s[0:1], 0x230                            // 0000000040C8: C0020D40 00000230
	s_load_dword s49, s[0:1], 0x240                            // 0000000040D0: C0020C40 00000240
	s_load_dwordx2 s[88:89], s[0:1], 0x250                     // 0000000040D8: C0061600 00000250
	s_load_dwordx2 s[92:93], s[0:1], 0x260                     // 0000000040E0: C0061700 00000260
	s_load_dwordx2 s[96:97], s[0:1], 0x270                     // 0000000040E8: C0061800 00000270
	s_load_dwordx2 s[100:101], s[0:1], 0x280                   // 0000000040F0: C0061900 00000280
	v_lshrrev_b32_e32 v1, 10, v0                               // 0000000040F8: 2002008A
	v_lshrrev_b32_e32 v2, 10, v1                               // 0000000040FC: 2004028A
	v_and_b32_e32 v2, 0x3ff, v2                                // 000000004100: 260404FF 000003FF
	v_and_b32_e32 v1, 0x3ff, v1                                // 000000004108: 260202FF 000003FF
	v_and_b32_e32 v0, 0x3ff, v0                                // 000000004110: 260000FF 000003FF
	v_lshrrev_b32_e32 v3, 6, v0                                // 000000004118: 20060086
	v_and_b32_e32 v0, 63, v0                                   // 00000000411C: 260000BF
	s_mov_b32 s2, s2                                           // 000000004120: BE820002
	s_mov_b32 s3, s3                                           // 000000004124: BE830003
	s_mov_b32 s4, s4                                           // 000000004128: BE840004
	v_readfirstlane_b32 s46, v3                                // 00000000412C: 7E5C0503
	s_waitcnt lgkmcnt(0)                                       // 000000004130: BF8CC07F
	s_mul_i32 s60, s4, 4                                       // 000000004134: 923C8404
	s_add_u32 s88, s60, s88                                    // 000000004138: 8058583C
	s_addc_u32 s89, 0, s89                                     // 00000000413C: 82595980
	s_load_dwordx2 s[84:85], s[88:89], 0x0                     // 000000004140: C006152C 00000000
	s_add_u32 s96, s60, s96                                    // 000000004148: 8060603C
	s_addc_u32 s97, 0, s97                                     // 00000000414C: 82616180
	s_load_dword s90, s[96:97], 0x0                            // 000000004150: C00216B0 00000000
	s_add_u32 s92, s60, s92                                    // 000000004158: 805C5C3C
	s_addc_u32 s93, 0, s93                                     // 00000000415C: 825D5D80
	s_load_dwordx2 s[86:87], s[92:93], 0x0                     // 000000004160: C00615AE 00000000
	s_add_u32 s100, s60, s100                                  // 000000004168: 8064643C
	s_addc_u32 s101, 0, s101                                   // 00000000416C: 82656580
	s_load_dword s94, s[100:101], 0x0                          // 000000004170: C00217B2 00000000
	s_mov_b32 s11, 0x20000                                     // 000000004178: BE8B00FF 00020000
	s_mov_b32 s15, 0x20000                                     // 000000004180: BE8F00FF 00020000
	s_mov_b32 s19, 0x20000                                     // 000000004188: BE9300FF 00020000
	s_mov_b32 s23, 0x20000                                     // 000000004190: BE9700FF 00020000
	s_mov_b32 s27, 0x20000                                     // 000000004198: BE9B00FF 00020000
	s_mov_b32 s31, 0x20000                                     // 0000000041A0: BE9F00FF 00020000
	s_mov_b32 s35, 0x20000                                     // 0000000041A8: BEA300FF 00020000
	s_mov_b32 s39, 0x20000                                     // 0000000041B0: BEA700FF 00020000
	s_mov_b32 s43, 0x20000                                     // 0000000041B8: BEAB00FF 00020000
	s_and_b32 s9, s9, 0xffff                                   // 0000000041C0: 8609FF09 0000FFFF
	s_and_b32 s13, s13, 0xffff                                 // 0000000041C8: 860DFF0D 0000FFFF
	s_and_b32 s17, s17, 0xffff                                 // 0000000041D0: 8611FF11 0000FFFF
	s_and_b32 s21, s21, 0xffff                                 // 0000000041D8: 8615FF15 0000FFFF
	s_and_b32 s25, s25, 0xffff                                 // 0000000041E0: 8619FF19 0000FFFF
	s_and_b32 s29, s29, 0xffff                                 // 0000000041E8: 861DFF1D 0000FFFF
	s_and_b32 s33, s33, 0xffff                                 // 0000000041F0: 8621FF21 0000FFFF
	s_and_b32 s37, s37, 0xffff                                 // 0000000041F8: 8625FF25 0000FFFF
	s_and_b32 s41, s41, 0xffff                                 // 000000004200: 8629FF29 0000FFFF
	s_or_b32 s9, s9, 0x40000                                   // 000000004208: 8709FF09 00040000
	s_or_b32 s13, s13, 0x40000                                 // 000000004210: 870DFF0D 00040000
	s_or_b32 s17, s17, 0x40000                                 // 000000004218: 8711FF11 00040000
	s_or_b32 s21, s21, 0x40000                                 // 000000004220: 8715FF15 00040000
	s_or_b32 s25, s25, 0x40000                                 // 000000004228: 8719FF19 00040000
	s_or_b32 s29, s29, 0x40000                                 // 000000004230: 871DFF1D 00040000
	s_or_b32 s33, s33, 0x40000                                 // 000000004238: 8721FF21 00040000
	s_or_b32 s37, s37, 0x40000                                 // 000000004240: 8725FF25 00040000
	s_or_b32 s41, s41, 0x40000                                 // 000000004248: 8729FF29 00040000
	v_accvgpr_write_b32 a159, 0                                // 000000004250: D3D9409F 18000080
	v_mov_b32_e32 v232, 0                                      // 000000004258: 7FD00280
	s_mov_b32 s71, s3                                          // 00000000425C: BEC70003
	v_cvt_f32_u32_e32 v32, s44                                 // 000000004260: 7E400C2C
	s_sub_i32 s60, 0, s44                                      // 000000004264: 81BC2C80
	v_rcp_iflag_f32_e32 v32, v32                               // 000000004268: 7E404720
	s_nop 0                                                    // 00000000426C: BF800000
	v_mul_f32_e32 v32, 0x4f7ffffe, v32                         // 000000004270: 0A4040FF 4F7FFFFE
	v_cvt_u32_f32_e32 v32, v32                                 // 000000004278: 7E400F20
	v_mul_lo_u32 v33, s60, v32                                 // 00000000427C: D2850021 0002403C
	v_mul_hi_u32 v33, v32, v33                                 // 000000004284: D2860021 00024320
	v_add_u32_e32 v32, v32, v33                                // 00000000428C: 68404320
	v_mul_hi_u32 v32, s71, v32                                 // 000000004290: D2860020 00024047
	v_mul_lo_u32 v33, v32, s44                                 // 000000004298: D2850021 00005920
	v_sub_u32_e32 v35, s71, v33                                // 0000000042A0: 6A464247
	v_add_u32_e32 v34, 1, v32                                  // 0000000042A4: 68444081
	v_cmp_le_u32_e32 vcc, s44, v35                             // 0000000042A8: 7D96462C
	v_subrev_u32_e32 v33, s44, v35                             // 0000000042AC: 6C42462C
	s_nop 0                                                    // 0000000042B0: BF800000
	v_cndmask_b32_e32 v32, v32, v34, vcc                       // 0000000042B4: 00404520
	v_cndmask_b32_e32 v35, v35, v33, vcc                       // 0000000042B8: 00464323
	v_add_u32_e32 v33, 1, v32                                  // 0000000042BC: 68424081
	v_cmp_le_u32_e32 vcc, s44, v35                             // 0000000042C0: 7D96462C
	s_nop 1                                                    // 0000000042C4: BF800001
	v_cndmask_b32_e32 v35, v32, v33, vcc                       // 0000000042C8: 00464320
	s_nop 3                                                    // 0000000042CC: BF800003
	v_readfirstlane_b32 s45, v35                               // 0000000042D0: 7E5A0523
	s_nop 3                                                    // 0000000042D4: BF800003
	s_waitcnt lgkmcnt(0)                                       // 0000000042D8: BF8CC07F
	s_mul_i32 s61, s2, 0x180                                   // 0000000042DC: 923DFF02 00000180
	s_sub_i32 s87, s87, s86                                    // 0000000042E4: 81D75657
	s_mov_b32 s86, s94                                         // 0000000042E8: BED6005E
	s_sub_i32 s85, s85, s84                                    // 0000000042EC: 81D55455
	s_mov_b32 s84, s90                                         // 0000000042F0: BED4005A
	s_cmp_gt_i32 s85, 0                                        // 0000000042F4: BF028055
	s_cbranch_scc0 label_17DE                                  // 0000000042F8: BF8416FB
	s_mov_b32 s59, 0                                           // 0000000042FC: BEBB0080
	s_mov_b32 s58, s85                                         // 000000004300: BEBA0055
	s_cmp_ge_i32 s61, s87                                      // 000000004304: BF03573D
	s_cbranch_scc1 label_17DE                                  // 000000004308: BF8516F7
	s_mul_i32 s61, s45, s79                                    // 00000000430C: 923D4F2D
	s_mov_b32 s54, s61                                         // 000000004310: BEB6003D
	s_add_u32 s12, s54, s12                                    // 000000004314: 800C0C36
	s_addc_u32 s13, 0, s13                                     // 000000004318: 820D0D80
	s_mul_i32 s60, s86, s6                                     // 00000000431C: 923C0656
	s_mul_hi_u32 s61, s86, s6                                  // 000000004320: 963D0656
	s_and_b32 s61, s61, 0xffff                                 // 000000004324: 863DFF3D 0000FFFF
	s_add_u32 s12, s12, s60                                    // 00000000432C: 800C3C0C
	s_addc_u32 s13, s13, s61                                   // 000000004330: 820D3D0D
	s_mul_i32 s61, s45, s80                                    // 000000004334: 923D502D
	s_mov_b32 s54, s61                                         // 000000004338: BEB6003D
	s_add_u32 s16, s54, s16                                    // 00000000433C: 80101036
	s_addc_u32 s17, 0, s17                                     // 000000004340: 82111180
	s_mul_i32 s60, s86, s7                                     // 000000004344: 923C0756
	s_mul_hi_u32 s61, s86, s7                                  // 000000004348: 963D0756
	s_and_b32 s61, s61, 0xffff                                 // 00000000434C: 863DFF3D 0000FFFF
	s_add_u32 s16, s16, s60                                    // 000000004354: 80103C10
	s_addc_u32 s17, s17, s61                                   // 000000004358: 82113D11
	s_mul_i32 s61, s3, s78                                     // 00000000435C: 923D4E03
	s_mov_b32 s55, s61                                         // 000000004360: BEB7003D
	s_add_u32 s8, s55, s8                                      // 000000004364: 80080837
	s_addc_u32 s9, 0, s9                                       // 000000004368: 82090980
	s_mul_i32 s60, s84, s5                                     // 00000000436C: 923C0554
	s_mul_hi_u32 s61, s84, s5                                  // 000000004370: 963D0554
	s_and_b32 s61, s61, 0xffff                                 // 000000004374: 863DFF3D 0000FFFF
	s_add_u32 s8, s8, s60                                      // 00000000437C: 80083C08
	s_addc_u32 s9, s9, s61                                     // 000000004380: 82093D09
	s_mul_i32 s61, s3, s81                                     // 000000004384: 923D5103
	s_mov_b32 s56, s61                                         // 000000004388: BEB8003D
	s_add_u32 s20, s56, s20                                    // 00000000438C: 80141438
	s_addc_u32 s21, 0, s21                                     // 000000004390: 82151580
	s_mul_i32 s60, s84, s51                                    // 000000004394: 923C3354
	s_mul_hi_u32 s61, s84, s51                                 // 000000004398: 963D3354
	s_and_b32 s61, s61, 0xffff                                 // 00000000439C: 863DFF3D 0000FFFF
	s_add_u32 s20, s20, s60                                    // 0000000043A4: 80143C14
	s_addc_u32 s21, s21, s61                                   // 0000000043A8: 82153D15
	s_mul_i32 s62, 4, s84                                      // 0000000043AC: 923E5484
	s_mul_i32 s61, s3, s49                                     // 0000000043B0: 923D3103
	s_add_u32 s65, s61, s62                                    // 0000000043B4: 80413E3D
	s_mov_b32 s26, s85                                         // 0000000043B8: BE9A0055
	s_mov_b32 s30, s85                                         // 0000000043BC: BE9E0055
	s_add_u32 s24, s65, s24                                    // 0000000043C0: 80181841
	s_addc_u32 s25, 0, s25                                     // 0000000043C4: 82191980
	s_add_u32 s28, s65, s28                                    // 0000000043C8: 801C1C41
	s_addc_u32 s29, 0, s29                                     // 0000000043CC: 821D1D80
	s_mul_i32 s61, s3, s82                                     // 0000000043D0: 923D5203
	s_mul_i32 s62, s86, s52                                    // 0000000043D4: 923E3456
	s_add_u32 s60, s61, s62                                    // 0000000043D8: 803C3E3D
	s_mul_hi_u32 s61, s86, s52                                 // 0000000043DC: 963D3456
	s_and_b32 s61, s61, 0xffff                                 // 0000000043E0: 863DFF3D 0000FFFF
	s_add_u32 s36, s60, s36                                    // 0000000043E8: 8024243C
	s_addc_u32 s37, s61, s37                                   // 0000000043EC: 8225253D
	s_mul_i32 s60, s87, s52                                    // 0000000043F0: 923C3457
	s_lshr_b32 s60, s60, 2                                     // 0000000043F4: 8F3C823C
	s_mov_b32 s38, s60                                         // 0000000043F8: BEA6003C
	s_mul_i32 s61, s3, s83                                     // 0000000043FC: 923D5303
	s_mul_i32 s62, s86, s53                                    // 000000004400: 923E3556
	s_add_u32 s60, s61, s62                                    // 000000004404: 803C3E3D
	s_mul_hi_u32 s61, s86, s53                                 // 000000004408: 963D3556
	s_and_b32 s61, s61, 0xffff                                 // 00000000440C: 863DFF3D 0000FFFF
	s_add_u32 s40, s60, s40                                    // 000000004414: 8028283C
	s_addc_u32 s41, s61, s41                                   // 000000004418: 8229293D
	s_mul_i32 s60, s87, s53                                    // 00000000441C: 923C3557
	s_lshr_b32 s60, s60, 2                                     // 000000004420: 8F3C823C
	s_mov_b32 s42, s60                                         // 000000004424: BEAA003C
	s_mul_i32 s60, 64, s65                                     // 000000004428: 923C41C0
	s_mul_hi_u32 s61, 64, s65                                  // 00000000442C: 963D41C0
	s_and_b32 s61, s61, 0xffff                                 // 000000004430: 863DFF3D 0000FFFF
	s_add_u32 s32, s60, s32                                    // 000000004438: 8020203C
	s_addc_u32 s33, s61, s33                                   // 00000000443C: 8221213D
	s_mul_i32 s60, 64, s85                                     // 000000004440: 923C55C0
	s_mov_b32 s34, s60                                         // 000000004444: BEA2003C
	s_mov_b32 s90, s8                                          // 000000004448: BEDA0008
	s_mov_b32 s94, s12                                         // 00000000444C: BEDE000C
	s_mov_b32 s96, s16                                         // 000000004450: BEE00010
	s_mov_b32 s98, s20                                         // 000000004454: BEE20014
	s_mov_b32 s91, s9                                          // 000000004458: BEDB0009
	s_mov_b32 s95, s13                                         // 00000000445C: BEDF000D
	s_mov_b32 s97, s17                                         // 000000004460: BEE10011
	s_mov_b32 s99, s21                                         // 000000004464: BEE30015
	s_add_u32 s71, 0xbf, s87                                   // 000000004468: 804757FF 000000BF
	s_mov_b32 s74, 0xc0                                        // 000000004470: BECA00FF 000000C0
	v_cvt_f32_u32_e32 v32, s74                                 // 000000004478: 7E400C4A
	s_sub_i32 s60, 0, s74                                      // 00000000447C: 81BC4A80
	v_rcp_iflag_f32_e32 v32, v32                               // 000000004480: 7E404720
	s_nop 0                                                    // 000000004484: BF800000
	v_mul_f32_e32 v32, 0x4f7ffffe, v32                         // 000000004488: 0A4040FF 4F7FFFFE
	v_cvt_u32_f32_e32 v32, v32                                 // 000000004490: 7E400F20
	v_mul_lo_u32 v33, s60, v32                                 // 000000004494: D2850021 0002403C
	v_mul_hi_u32 v33, v32, v33                                 // 00000000449C: D2860021 00024320
	v_add_u32_e32 v32, v32, v33                                // 0000000044A4: 68404320
	v_mul_hi_u32 v32, s71, v32                                 // 0000000044A8: D2860020 00024047
	v_mul_lo_u32 v33, v32, s74                                 // 0000000044B0: D2850021 00009520
	v_sub_u32_e32 v35, s71, v33                                // 0000000044B8: 6A464247
	v_add_u32_e32 v34, 1, v32                                  // 0000000044BC: 68444081
	v_cmp_le_u32_e32 vcc, s74, v35                             // 0000000044C0: 7D96464A
	v_subrev_u32_e32 v33, s74, v35                             // 0000000044C4: 6C42464A
	s_nop 0                                                    // 0000000044C8: BF800000
	v_cndmask_b32_e32 v32, v32, v34, vcc                       // 0000000044CC: 00404520
	v_cndmask_b32_e32 v35, v35, v33, vcc                       // 0000000044D0: 00464323
	v_add_u32_e32 v33, 1, v32                                  // 0000000044D4: 68424081
	v_cmp_le_u32_e32 vcc, s74, v35                             // 0000000044D8: 7D96464A
	s_nop 1                                                    // 0000000044DC: BF800001
	v_cndmask_b32_e32 v35, v32, v33, vcc                       // 0000000044E0: 00464320
	s_nop 3                                                    // 0000000044E4: BF800003
	v_readfirstlane_b32 s77, v35                               // 0000000044E8: 7E9A0523
	s_nop 3                                                    // 0000000044EC: BF800003
	v_mov_b32_e32 v32, s47                                     // 0000000044F0: 7E40022F
	v_mul_f32_e32 v32, s48, v32                                // 0000000044F4: 0A404030
	s_mov_b32 s63, 0x5040100                                   // 0000000044F8: BEBF00FF 05040100
	s_mov_b32 s64, 0x7060302                                   // 000000004500: BEC000FF 07060302
	v_readfirstlane_b32 s57, v32                               // 000000004508: 7E720520
	v_mov_b32_e32 v34, 0x3020706                               // 00000000450C: 7E4402FF 03020706
	v_mov_b32_e32 v32, s63                                     // 000000004514: 7E40023F
	v_and_b32_e32 v33, 1, v0                                   // 000000004518: 26420081
	v_cmp_eq_u32_e32 vcc, 1, v33                               // 00000000451C: 7D944281
	s_mov_b32 s67, 0x800                                       // 000000004520: BEC300FF 00000800
	v_cndmask_b32_e32 v17, v32, v34, vcc                       // 000000004528: 00224520
	s_cmp_lt_u32 s46, 2                                        // 00000000452C: BF0A822E
	s_cselect_b32 s24, s24, s28                                // 000000004530: 85181C18
	s_cselect_b32 s25, s25, s29                                // 000000004534: 85191D19
	s_cselect_b32 s26, s26, s30                                // 000000004538: 851A1E1A
	s_cselect_b32 s27, s27, s31                                // 00000000453C: 851B1F1B
	s_lshr_b32 s60, s46, 1                                     // 000000004540: 8F3C812E
	s_lshl_b32 s60, s60, 8                                     // 000000004544: 8E3C883C
	s_add_u32 s78, 0x9a00, s60                                 // 000000004548: 804E3CFF 00009A00
	s_add_u32 s79, 0x200, s78                                  // 000000004550: 804F4EFF 00000200
	s_mov_b32 m0, s78                                          // 000000004558: BEFC004E
	s_mov_b32 s75, 0                                           // 00000000455C: BECB0080
	s_mov_b32 s76, 1                                           // 000000004560: BECC0081
	s_lshl_b32 s60, s2, 1                                      // 000000004564: 8E3C8102
	s_add_u32 s60, 1, s60                                      // 000000004568: 803C3C81
	s_cmp_ge_i32 s60, s77                                      // 00000000456C: BF034D3C
	s_cselect_b32 s76, s76, 2                                  // 000000004570: 854C824C

0000000000004574 <label_015D>:
	s_mov_b32 m0, s78                                          // 000000004574: BEFC004E
	s_mov_b32 s66, 0                                           // 000000004578: BEC20080
	v_mov_b32_e32 v178, 0xff800000                             // 00000000457C: 7F6402FF FF800000
	s_mov_b32 s74, 0                                           // 000000004584: BECA0080
	s_mul_i32 s68, 8, s5                                       // 000000004588: 92440588
	s_mul_i32 s100, 8, s51                                     // 00000000458C: 92643388
	s_mov_b32 s69, 32                                          // 000000004590: BEC500A0
	s_mul_i32 s81, 0xc0, s2                                    // 000000004594: 925102FF 000000C0
	s_sub_i32 s60, s87, s85                                    // 00000000459C: 81BC5557
	s_sub_i32 s71, s81, s60                                    // 0000000045A0: 81C73C51
	s_cmp_ge_i32 s71, 0                                        // 0000000045A4: BF038047
	s_cselect_b32 s59, s71, 0                                  // 0000000045A8: 853B8047
	s_add_i32 s60, s71, 0xc0                                   // 0000000045AC: 813CFF47 000000C0
	s_cmp_le_i32 s60, 0                                        // 0000000045B4: BF05803C
	s_cbranch_scc0 label_0171                                  // 0000000045B8: BF840002
	s_mov_b32 s80, 0                                           // 0000000045BC: BED00080
	s_branch label_017D                                        // 0000000045C0: BF82000C

00000000000045c4 <label_0171>:
	s_mov_b32 s80, 1                                           // 0000000045C4: BED00081
	s_sub_i32 s60, s59, s71                                    // 0000000045C8: 81BC473B
	v_lshrrev_b32_e32 v32, 4, v0                               // 0000000045CC: 20400084
	v_mul_i32_i24_e32 v32, 4, v32                              // 0000000045D0: 0C404084
	v_add_i32 v32, v32, s60                                    // 0000000045D4: D29C0020 00007920
	v_and_b32_e32 v33, 15, v0                                  // 0000000045DC: 2642008F
	v_mul_i32_i24_e64 v34, s46, 16                             // 0000000045E0: D1060022 0001202E
	v_add_u32_e32 v33, v33, v34                                // 0000000045E8: 68424521
	v_sub_i32 v232, v33, v32                                   // 0000000045EC: D29D00E8 00024121

00000000000045f4 <label_017D>:
	s_mul_i32 s54, s6, s81                                     // 0000000045F4: 92365106
	s_sub_i32 s61, s87, s81                                    // 0000000045F8: 81BD5157
	s_mul_i32 s62, s6, s61                                     // 0000000045FC: 923E3D06
	s_lshr_b32 s62, s62, 2                                     // 000000004600: 8F3E823E
	s_mov_b32 s14, s62                                         // 000000004604: BE8E003E
	s_add_u32 s12, s54, s94                                    // 000000004608: 800C5E36
	s_addc_u32 s13, 0, s95                                     // 00000000460C: 820D5F80
	s_mul_i32 s54, s7, s81                                     // 000000004610: 92365107
	s_mul_i32 s62, s7, s61                                     // 000000004614: 923E3D07
	s_lshr_b32 s62, s62, 2                                     // 000000004618: 8F3E823E
	s_mov_b32 s18, s62                                         // 00000000461C: BE92003E
	s_add_u32 s16, s54, s96                                    // 000000004620: 80106036
	s_addc_u32 s17, 0, s97                                     // 000000004624: 82116180
	s_mov_b32 s71, s6                                          // 000000004628: BEC70006
	v_lshrrev_b32_e32 v32, 4, v0                               // 00000000462C: 20400084
	v_and_b32_e32 v33, 1, v32                                  // 000000004630: 26424081
	v_lshlrev_b32_e32 v33, 1, v33                              // 000000004634: 24424281
	v_mul_i32_i24_e32 v33, s71, v33                            // 000000004638: 0C424247
	v_and_b32_e32 v34, 2, v32                                  // 00000000463C: 26444082
	v_lshlrev_b32_e32 v34, 5, v34                              // 000000004640: 24444485
	v_add_u32_e32 v33, v34, v33                                // 000000004644: 68424322
	v_and_b32_e32 v32, 15, v0                                  // 000000004648: 2640008F
	v_lshlrev_b32_e32 v32, 2, v32                              // 00000000464C: 24404082
	v_add_u32_e32 v1, v32, v33                                 // 000000004650: 68024320
	s_mul_i32 s60, s46, s71                                    // 000000004654: 923C472E
	s_mul_i32 s60, s60, 4                                      // 000000004658: 923C843C
	v_add_u32_e32 v1, s60, v1                                  // 00000000465C: 6802023C
	v_add_u32_e32 v2, s71, v1                                  // 000000004660: 68040247
	s_mul_i32 s60, 16, s71                                     // 000000004664: 923C4790
	v_add_u32_e32 v3, s60, v1                                  // 000000004668: 6806023C
	v_add_u32_e32 v4, s60, v2                                  // 00000000466C: 6808043C
	s_mov_b32 s71, s7                                          // 000000004670: BEC70007
	v_lshrrev_b32_e32 v32, 4, v0                               // 000000004674: 20400084
	v_and_b32_e32 v33, 1, v32                                  // 000000004678: 26424081
	v_lshlrev_b32_e32 v33, 1, v33                              // 00000000467C: 24424281
	v_mul_i32_i24_e32 v33, s71, v33                            // 000000004680: 0C424247
	v_and_b32_e32 v34, 2, v32                                  // 000000004684: 26444082
	v_lshlrev_b32_e32 v34, 5, v34                              // 000000004688: 24444485
	v_add_u32_e32 v33, v34, v33                                // 00000000468C: 68424322
	v_and_b32_e32 v32, 15, v0                                  // 000000004690: 2640008F
	v_lshlrev_b32_e32 v32, 2, v32                              // 000000004694: 24404082
	v_add_u32_e32 v228, v32, v33                               // 000000004698: 69C84320
	s_mul_i32 s60, s46, s71                                    // 00000000469C: 923C472E
	s_mul_i32 s60, s60, 4                                      // 0000000046A0: 923C843C
	v_add_u32_e32 v228, s60, v228                              // 0000000046A4: 69C9C83C
	v_add_u32_e32 v229, s71, v228                              // 0000000046A8: 69CBC847
	s_mul_i32 s60, 16, s71                                     // 0000000046AC: 923C4790
	v_add_u32_e32 v230, s60, v228                              // 0000000046B0: 69CDC83C
	v_add_u32_e32 v231, s60, v229                              // 0000000046B4: 69CFCA3C
	v_lshrrev_b32_e32 v1, 2, v1                                // 0000000046B8: 20020282
	v_lshrrev_b32_e32 v2, 2, v2                                // 0000000046BC: 20040482
	v_lshrrev_b32_e32 v228, 2, v228                            // 0000000046C0: 21C9C882
	v_lshrrev_b32_e32 v229, 2, v229                            // 0000000046C4: 21CBCA82
	s_mov_b32 s70, s52                                         // 0000000046C8: BEC60034
	v_lshrrev_b32_e32 v32, 3, v0                               // 0000000046CC: 20400083
	v_mul_i32_i24_e32 v5, s70, v32                             // 0000000046D0: 0C0A4046
	v_lshrrev_b32_e32 v5, 2, v5                                // 0000000046D4: 200A0A82
	v_and_b32_e32 v32, 7, v0                                   // 0000000046D8: 26400087
	v_lshlrev_b32_e32 v33, 2, v32                              // 0000000046DC: 24424082
	v_add_u32_e32 v5, v33, v5                                  // 0000000046E0: 680A0B21
	s_mul_i32 s60, 16, s70                                     // 0000000046E4: 923C4690
	s_mul_i32 s60, s46, s60                                    // 0000000046E8: 923C3C2E
	v_lshlrev_b32_e32 v5, 2, v5                                // 0000000046EC: 240A0A82
	v_add_u32_e32 v5, s60, v5                                  // 0000000046F0: 680A0A3C
	s_mul_i32 s60, s52, s81                                    // 0000000046F4: 923C5134
	v_add_u32_e32 v5, s60, v5                                  // 0000000046F8: 680A0A3C
	v_lshrrev_b32_e32 v5, 2, v5                                // 0000000046FC: 200A0A82
	s_mov_b32 s70, s53                                         // 000000004700: BEC60035
	v_lshrrev_b32_e32 v32, 3, v0                               // 000000004704: 20400083
	v_mul_i32_i24_e32 v10, s70, v32                            // 000000004708: 0C144046
	v_lshrrev_b32_e32 v10, 2, v10                              // 00000000470C: 20141482
	v_and_b32_e32 v32, 7, v0                                   // 000000004710: 26400087
	v_lshlrev_b32_e32 v33, 2, v32                              // 000000004714: 24424082
	v_add_u32_e32 v10, v33, v10                                // 000000004718: 68141521
	s_mul_i32 s60, 16, s70                                     // 00000000471C: 923C4690
	s_mul_i32 s60, s46, s60                                    // 000000004720: 923C3C2E
	v_lshlrev_b32_e32 v10, 2, v10                              // 000000004724: 24141482
	v_add_u32_e32 v10, s60, v10                                // 000000004728: 6814143C
	s_mul_i32 s60, s53, s81                                    // 00000000472C: 923C5135
	v_add_u32_e32 v10, s60, v10                                // 000000004730: 6814143C
	v_lshrrev_b32_e32 v10, 2, v10                              // 000000004734: 20141482
	s_cmp_ge_i32 s59, s85                                      // 000000004738: BF03553B
	s_cselect_b32 s59, s85, s59                                // 00000000473C: 853B3B55
	s_add_u32 s73, 32, s59                                     // 000000004740: 80493BA0
	s_mul_i32 s55, s5, s59                                     // 000000004744: 92373B05
	s_sub_i32 s61, s85, s59                                    // 000000004748: 81BD3B55
	s_mul_i32 s62, s5, s61                                     // 00000000474C: 923E3D05
	s_lshr_b32 s62, s62, 2                                     // 000000004750: 8F3E823E
	s_mov_b32 s10, s62                                         // 000000004754: BE8A003E
	s_add_u32 s8, s55, s90                                     // 000000004758: 80085A37
	s_addc_u32 s9, 0, s91                                      // 00000000475C: 82095B80
	s_mul_i32 s56, s51, s59                                    // 000000004760: 92383B33
	s_mul_i32 s62, s51, s61                                    // 000000004764: 923E3D33
	s_lshr_b32 s62, s62, 2                                     // 000000004768: 8F3E823E
	s_mov_b32 s22, s62                                         // 00000000476C: BE96003E
	s_add_u32 s20, s56, s98                                    // 000000004770: 80146238
	s_addc_u32 s21, 0, s99                                     // 000000004774: 82156380
	s_mul_i32 s65, s59, 4                                      // 000000004778: 9241843B
	v_and_b32_e32 v11, 31, v0                                  // 00000000477C: 2616009F
	v_lshlrev_b32_e32 v11, 2, v11                              // 000000004780: 24161682
	v_add_u32_e32 v11, s65, v11                                // 000000004784: 68161641
	v_lshrrev_b32_e32 v11, 2, v11                              // 000000004788: 20161682
	v_lshrrev_b32_e32 v32, 5, v0                               // 00000000478C: 20400085
	v_mul_i32_i24_e32 v6, 0x80, v32                            // 000000004790: 0C0C40FF 00000080
	v_and_b32_e32 v32, 31, v0                                  // 000000004798: 2640009F
	v_add_u32_e32 v6, v32, v6                                  // 00000000479C: 680C0D20
	s_mul_i32 s60, s46, 0x100                                  // 0000000047A0: 923CFF2E 00000100
	v_add_u32_e32 v6, s60, v6                                  // 0000000047A8: 680C0C3C
	v_lshlrev_b32_e32 v6, 2, v6                                // 0000000047AC: 240C0C82
	v_add_u32_e32 v7, 0x100, v6                                // 0000000047B0: 680E0CFF 00000100
	v_add_u32_e32 v8, 0x1000, v6                               // 0000000047B8: 68100CFF 00001000
	v_add_u32_e32 v9, 0x1000, v7                               // 0000000047C0: 68120EFF 00001000
	s_mul_i32 s60, 64, s65                                     // 0000000047C8: 923C41C0
	v_add_u32_e32 v6, s60, v6                                  // 0000000047CC: 680C0C3C
	v_lshrrev_b32_e32 v6, 2, v6                                // 0000000047D0: 200C0C82
	v_add_u32_e32 v7, s60, v7                                  // 0000000047D4: 680E0E3C
	v_lshrrev_b32_e32 v7, 2, v7                                // 0000000047D8: 200E0E82
	v_add_u32_e32 v8, s60, v8                                  // 0000000047DC: 6810103C
	v_lshrrev_b32_e32 v8, 2, v8                                // 0000000047E0: 20101082
	v_add_u32_e32 v9, s60, v9                                  // 0000000047E4: 6812123C
	v_lshrrev_b32_e32 v9, 2, v9                                // 0000000047E8: 20121282
	s_mul_i32 s60, 3, s2                                       // 0000000047EC: 923C0283
	s_add_u32 s61, s87, 63                                     // 0000000047F0: 803DBF57
	s_lshr_b32 s61, s61, 6                                     // 0000000047F4: 8F3D863D
	s_sub_i32 s72, s61, s60                                    // 0000000047F8: 81C83C3D
	s_cmp_lt_i32 s72, 3                                        // 0000000047FC: BF048348
	s_cselect_b32 s72, s72, 3                                  // 000000004800: 85488348
	s_mul_i32 s60, 0xc0, s2                                    // 000000004804: 923C02FF 000000C0
	s_sub_i32 s84, s87, s60                                    // 00000000480C: 81D43C57
	v_and_b32_e32 v32, 31, v0                                  // 000000004810: 2640009F
	v_lshrrev_b32_e32 v32, 1, v32                              // 000000004814: 20404081
	v_and_b32_e32 v33, 1, v32                                  // 000000004818: 26424081
	v_lshlrev_b32_e32 v33, 4, v33                              // 00000000481C: 24424284
	v_and_b32_e32 v34, 2, v32                                  // 000000004820: 26444082
	v_lshlrev_b32_e32 v34, 2, v34                              // 000000004824: 24444482
	v_add_u32_e32 v33, v34, v33                                // 000000004828: 68424322
	v_and_b32_e32 v34, 12, v32                                 // 00000000482C: 2644408C
	v_lshrrev_b32_e32 v34, 1, v34                              // 000000004830: 20444481
	v_add_u32_e32 v33, v34, v33                                // 000000004834: 68424322
	v_lshrrev_b32_e32 v32, 5, v0                               // 000000004838: 20400085
	v_mul_i32_i24_e32 v34, 0x80, v32                           // 00000000483C: 0C4440FF 00000080
	v_add_u32_e32 v33, v34, v33                                // 000000004844: 68424322
	v_and_b32_e32 v34, 1, v0                                   // 000000004848: 26440081
	v_add_u32_e32 v13, v34, v33                                // 00000000484C: 681A4322
	s_mul_i32 s60, s46, 32                                     // 000000004850: 923CA02E
	v_add_u32_e32 v13, s60, v13                                // 000000004854: 681A1A3C
	v_lshlrev_b32_e32 v13, 2, v13                              // 000000004858: 241A1A82
	v_lshrrev_b32_e32 v32, 4, v0                               // 00000000485C: 20400084
	v_and_b32_e32 v33, 1, v32                                  // 000000004860: 26424081
	v_lshlrev_b32_e32 v33, 4, v33                              // 000000004864: 24424284
	v_and_b32_e32 v34, 2, v32                                  // 000000004868: 26444082
	v_mul_i32_i24_e32 v34, 4, v34                              // 00000000486C: 0C444484
	v_add_u32_e32 v33, v34, v33                                // 000000004870: 68424322
	v_and_b32_e32 v32, 15, v0                                  // 000000004874: 2640008F
	v_lshrrev_b32_e32 v34, 2, v32                              // 000000004878: 20444082
	v_lshlrev_b32_e32 v34, 5, v34                              // 00000000487C: 24444485
	v_add_u32_e32 v33, v34, v33                                // 000000004880: 68424322
	v_and_b32_e32 v32, 3, v0                                   // 000000004884: 26400083
	v_and_b32_e32 v34, 1, v32                                  // 000000004888: 26444081
	v_mul_i32_i24_e32 v34, 0x108, v34                          // 00000000488C: 0C4444FF 00000108
	v_add_u32_e32 v33, v34, v33                                // 000000004894: 68424322
	v_and_b32_e32 v34, 2, v32                                  // 000000004898: 26444082
	v_lshlrev_b32_e32 v34, 1, v34                              // 00000000489C: 24444481
	v_add_u32_e32 v12, v34, v33                                // 0000000048A0: 68184322
	v_lshlrev_b32_e32 v12, 2, v12                              // 0000000048A4: 24181882
	s_mul_i32 s60, s46, 0x880                                  // 0000000048A8: 923CFF2E 00000880
	v_add_u32_e32 v24, s60, v12                                // 0000000048B0: 6830183C
	v_lshrrev_b32_e32 v32, 5, v0                               // 0000000048B4: 20400085
	v_mul_i32_i24_e32 v15, 0x80, v32                           // 0000000048B8: 0C1E40FF 00000080
	v_and_b32_e32 v32, 31, v0                                  // 0000000048C0: 2640009F
	v_and_b32_e32 v33, 7, v32                                  // 0000000048C4: 26424087
	v_and_b32_e32 v34, 1, v33                                  // 0000000048C8: 26444281
	v_lshlrev_b32_e32 v34, 2, v34                              // 0000000048CC: 24444482
	v_add_u32_e32 v15, v34, v15                                // 0000000048D0: 681E1F22
	v_and_b32_e32 v34, 2, v33                                  // 0000000048D4: 26444282
	v_lshlrev_b32_e32 v34, 3, v34                              // 0000000048D8: 24444483
	v_add_u32_e32 v15, v34, v15                                // 0000000048DC: 681E1F22
	v_and_b32_e32 v34, 4, v33                                  // 0000000048E0: 26444284
	v_lshlrev_b32_e32 v34, 1, v34                              // 0000000048E4: 24444481
	v_add_u32_e32 v15, v34, v15                                // 0000000048E8: 681E1F22
	v_lshrrev_b32_e32 v33, 3, v32                              // 0000000048EC: 20424083
	v_and_b32_e32 v34, 1, v33                                  // 0000000048F0: 26444281
	v_lshlrev_b32_e32 v34, 1, v34                              // 0000000048F4: 24444481
	v_add_u32_e32 v15, v34, v15                                // 0000000048F8: 681E1F22
	v_and_b32_e32 v34, 2, v33                                  // 0000000048FC: 26444282
	v_lshrrev_b32_e32 v34, 1, v34                              // 000000004900: 20444481
	v_add_u32_e32 v15, v34, v15                                // 000000004904: 681E1F22
	s_mul_i32 s60, s46, 32                                     // 000000004908: 923CA02E
	v_add_u32_e32 v15, s60, v15                                // 00000000490C: 681E1E3C
	v_lshlrev_b32_e32 v15, 2, v15                              // 000000004910: 241E1E82
	v_and_b32_e32 v32, 15, v0                                  // 000000004914: 2640008F
	v_and_b32_e32 v34, 1, v32                                  // 000000004918: 26444081
	v_mul_i32_i24_e32 v14, 0x108, v34                          // 00000000491C: 0C1C44FF 00000108
	v_and_b32_e32 v34, 2, v32                                  // 000000004924: 26444082
	v_lshlrev_b32_e32 v34, 1, v34                              // 000000004928: 24444481
	v_add_u32_e32 v14, v34, v14                                // 00000000492C: 681C1D22
	v_and_b32_e32 v34, 4, v32                                  // 000000004930: 26444084
	v_lshlrev_b32_e32 v34, 2, v34                              // 000000004934: 24444482
	v_add_u32_e32 v14, v34, v14                                // 000000004938: 681C1D22
	v_and_b32_e32 v34, 8, v32                                  // 00000000493C: 26444088
	v_add_u32_e32 v14, v34, v14                                // 000000004940: 681C1D22
	v_lshrrev_b32_e32 v32, 4, v0                               // 000000004944: 20400084
	v_and_b32_e32 v34, 1, v32                                  // 000000004948: 26444081
	v_lshlrev_b32_e32 v34, 5, v34                              // 00000000494C: 24444485
	v_add_u32_e32 v14, v34, v14                                // 000000004950: 681C1D22
	v_and_b32_e32 v33, 2, v32                                  // 000000004954: 26424082
	v_mul_i32_i24_e32 v34, 32, v33                             // 000000004958: 0C4442A0
	v_mul_i32_i24_e32 v33, 0x110, v33                          // 00000000495C: 0C4242FF 00000110
	v_add_u32_e32 v25, v33, v14                                // 000000004964: 68321D21
	v_add_u32_e32 v14, v34, v14                                // 000000004968: 681C1D22
	v_lshlrev_b32_e32 v14, 2, v14                              // 00000000496C: 241C1C82
	v_lshlrev_b32_e32 v25, 2, v25                              // 000000004970: 24323282
	s_and_b32 s60, 1, s46                                      // 000000004974: 863C2E81
	s_mul_i32 s60, s60, 0x200                                  // 000000004978: 923CFF3C 00000200
	v_add_u32_e32 v25, s60, v25                                // 000000004980: 6832323C
	v_lshrrev_b32_e32 v32, 4, v0                               // 000000004984: 20400084
	v_mul_i32_i24_e32 v23, 4, v32                              // 000000004988: 0C2E4084
	v_and_b32_e32 v33, 3, v0                                   // 00000000498C: 26420083
	v_add_u32_e32 v23, v33, v23                                // 000000004990: 682E2F21
	v_lshlrev_b32_e32 v23, 2, v23                              // 000000004994: 242E2E82
	v_lshrrev_b32_e32 v32, 4, v0                               // 000000004998: 20400084
	v_and_b32_e32 v33, 1, v32                                  // 00000000499C: 26424081
	v_mul_i32_i24_e32 v21, 0x100, v33                          // 0000000049A0: 0C2A42FF 00000100
	v_and_b32_e32 v33, 2, v32                                  // 0000000049A8: 26424082
	v_mul_i32_i24_e32 v33, 64, v33                             // 0000000049AC: 0C4242C0
	v_add_u32_e32 v21, v33, v21                                // 0000000049B0: 682A2B21
	v_and_b32_e32 v32, 15, v0                                  // 0000000049B4: 2640008F
	v_mul_i32_i24_e32 v33, 2, v32                              // 0000000049B8: 0C424082
	v_add_u32_e32 v21, v33, v21                                // 0000000049BC: 682A2B21
	s_mul_i32 s60, s46, 32                                     // 0000000049C0: 923CA02E
	v_add_u32_e32 v21, s60, v21                                // 0000000049C4: 682A2A3C
	v_lshlrev_b32_e32 v21, 2, v21                              // 0000000049C8: 242A2A82
	v_lshlrev_b32_e32 v22, 1, v0                               // 0000000049CC: 242C0081
	s_mul_i32 s60, s46, 0x200                                  // 0000000049D0: 923CFF2E 00000200
	v_add_u32_e32 v22, s60, v22                                // 0000000049D8: 682C2C3C
	v_lshlrev_b32_e32 v22, 2, v22                              // 0000000049DC: 242C2C82
	v_lshrrev_b32_e32 v32, 5, v0                               // 0000000049E0: 20400085
	v_mul_i32_i24_e32 v19, 64, v32                             // 0000000049E4: 0C2640C0
	v_and_b32_e32 v32, 31, v0                                  // 0000000049E8: 2640009F
	v_and_b32_e32 v32, 3, v32                                  // 0000000049EC: 26404083
	v_and_b32_e32 v33, 1, v32                                  // 0000000049F0: 26424081
	v_mul_i32_i24_e32 v33, 4, v33                              // 0000000049F4: 0C424284
	v_add_u32_e32 v19, v33, v19                                // 0000000049F8: 68262721
	v_and_b32_e32 v33, 2, v32                                  // 0000000049FC: 26424082
	v_mul_i32_i24_e32 v33, 0x44, v33                           // 000000004A00: 0C4242FF 00000044
	v_add_u32_e32 v19, v33, v19                                // 000000004A08: 68262721
	v_and_b32_e32 v32, 31, v0                                  // 000000004A0C: 2640009F
	v_lshrrev_b32_e32 v32, 2, v32                              // 000000004A10: 20404082
	v_lshrrev_b32_e32 v34, 2, v32                              // 000000004A14: 20444082
	v_mul_i32_i24_e32 v33, 16, v34                             // 000000004A18: 0C424490
	v_add_u32_e32 v19, v33, v19                                // 000000004A1C: 68262721
	v_and_b32_e32 v33, 2, v32                                  // 000000004A20: 26424082
	v_lshlrev_b32_e32 v33, 4, v33                              // 000000004A24: 24424284
	v_add_u32_e32 v19, v33, v19                                // 000000004A28: 68262721
	v_and_b32_e32 v33, 1, v32                                  // 000000004A2C: 26424081
	v_xor_b32_e32 v33, v34, v33                                // 000000004A30: 2A424322
	v_mul_i32_i24_e32 v33, 8, v33                              // 000000004A34: 0C424288
	v_add_u32_e32 v19, v33, v19                                // 000000004A38: 68262721
	s_lshr_b32 s60, s46, 1                                     // 000000004A3C: 8F3C812E
	s_mul_i32 s60, s60, 0x6c0                                  // 000000004A40: 923CFF3C 000006C0
	v_add_u32_e32 v19, s60, v19                                // 000000004A48: 6826263C
	v_lshlrev_b32_e32 v19, 2, v19                              // 000000004A4C: 24262682
	v_lshrrev_b32_e32 v32, 5, v0                               // 000000004A50: 20400085
	v_mul_i32_i24_e32 v20, 32, v32                             // 000000004A54: 0C2840A0
	v_and_b32_e32 v32, 31, v0                                  // 000000004A58: 2640009F
	v_and_b32_e32 v32, 3, v32                                  // 000000004A5C: 26404083
	v_and_b32_e32 v33, 1, v32                                  // 000000004A60: 26424081
	v_mul_i32_i24_e32 v33, 4, v33                              // 000000004A64: 0C424284
	v_add_u32_e32 v20, v33, v20                                // 000000004A68: 68282921
	v_and_b32_e32 v33, 2, v32                                  // 000000004A6C: 26424082
	v_lshrrev_b32_e32 v33, 1, v33                              // 000000004A70: 20424281
	v_add_u32_e32 v20, v33, v20                                // 000000004A74: 68282921
	v_and_b32_e32 v32, 31, v0                                  // 000000004A78: 2640009F
	v_lshrrev_b32_e32 v32, 2, v32                              // 000000004A7C: 20404082
	v_and_b32_e32 v34, 1, v32                                  // 000000004A80: 26444081
	v_mul_i32_i24_e32 v33, 16, v34                             // 000000004A84: 0C424490
	v_add_u32_e32 v20, v33, v20                                // 000000004A88: 68282921
	v_and_b32_e32 v33, 2, v32                                  // 000000004A8C: 26424082
	v_add_u32_e32 v20, v33, v20                                // 000000004A90: 68282921
	v_lshrrev_b32_e32 v33, 2, v32                              // 000000004A94: 20424082
	v_xor_b32_e32 v33, v34, v33                                // 000000004A98: 2A424322
	v_mul_i32_i24_e32 v33, 8, v33                              // 000000004A9C: 0C424288
	v_add_u32_e32 v20, v33, v20                                // 000000004AA0: 68282921
	s_and_b32 s60, 1, s46                                      // 000000004AA4: 863C2E81
	s_mul_i32 s60, s60, 64                                     // 000000004AA8: 923CC03C
	s_lshr_b32 s61, s46, 1                                     // 000000004AAC: 8F3D812E
	s_mul_i32 s61, s61, 0x120                                  // 000000004AB0: 923DFF3D 00000120
	s_add_u32 s60, s60, s61                                    // 000000004AB8: 803C3D3C
	v_add_u32_e32 v20, s60, v20                                // 000000004ABC: 6828283C
	v_lshlrev_b32_e32 v20, 2, v20                              // 000000004AC0: 24282882
	buffer_load_dword v180, v1, s[12:15], 0 idxen              // 000000004AC4: E0502000 8003B401
	buffer_load_dword v181, v2, s[12:15], 0 idxen              // 000000004ACC: E0502000 8003B502
	s_mul_i32 s60, 4, s6                                       // 000000004AD4: 923C0684
	s_cmp_lt_i32 0, s72                                        // 000000004AD8: BF044880
	s_cselect_b32 s60, s60, 0                                  // 000000004ADC: 853C803C
	v_add_u32_e32 v1, s60, v1                                  // 000000004AE0: 6802023C
	v_add_u32_e32 v2, s60, v2                                  // 000000004AE4: 6804043C
	buffer_load_dword v182, v1, s[12:15], 0 idxen              // 000000004AE8: E0502000 8003B601
	buffer_load_dword v183, v2, s[12:15], 0 idxen              // 000000004AF0: E0502000 8003B702
	s_mul_i32 s60, 4, s6                                       // 000000004AF8: 923C0684
	s_cmp_lt_i32 0, s72                                        // 000000004AFC: BF044880
	s_cselect_b32 s60, s60, 0                                  // 000000004B00: 853C803C
	v_add_u32_e32 v1, s60, v1                                  // 000000004B04: 6802023C
	v_add_u32_e32 v2, s60, v2                                  // 000000004B08: 6804043C
	buffer_load_dword v184, v1, s[12:15], 0 idxen              // 000000004B0C: E0502000 8003B801
	buffer_load_dword v185, v2, s[12:15], 0 idxen              // 000000004B14: E0502000 8003B902
	s_mul_i32 s60, 4, s6                                       // 000000004B1C: 923C0684
	s_cmp_lt_i32 0, s72                                        // 000000004B20: BF044880
	s_cselect_b32 s60, s60, 0                                  // 000000004B24: 853C803C
	v_add_u32_e32 v1, s60, v1                                  // 000000004B28: 6802023C
	v_add_u32_e32 v2, s60, v2                                  // 000000004B2C: 6804043C
	buffer_load_dword v186, v1, s[12:15], 0 idxen              // 000000004B30: E0502000 8003BA01
	buffer_load_dword v187, v2, s[12:15], 0 idxen              // 000000004B38: E0502000 8003BB02
	s_mul_i32 s60, 4, s6                                       // 000000004B40: 923C0684
	s_cmp_lt_i32 1, s72                                        // 000000004B44: BF044881
	s_cselect_b32 s60, s60, 0                                  // 000000004B48: 853C803C
	v_add_u32_e32 v1, s60, v1                                  // 000000004B4C: 6802023C
	v_add_u32_e32 v2, s60, v2                                  // 000000004B50: 6804043C
	buffer_load_dword v188, v1, s[12:15], 0 idxen              // 000000004B54: E0502000 8003BC01
	buffer_load_dword v189, v2, s[12:15], 0 idxen              // 000000004B5C: E0502000 8003BD02
	s_mul_i32 s60, 4, s6                                       // 000000004B64: 923C0684
	s_cmp_lt_i32 1, s72                                        // 000000004B68: BF044881
	s_cselect_b32 s60, s60, 0                                  // 000000004B6C: 853C803C
	v_add_u32_e32 v1, s60, v1                                  // 000000004B70: 6802023C
	v_add_u32_e32 v2, s60, v2                                  // 000000004B74: 6804043C
	buffer_load_dword v190, v1, s[12:15], 0 idxen              // 000000004B78: E0502000 8003BE01
	buffer_load_dword v191, v2, s[12:15], 0 idxen              // 000000004B80: E0502000 8003BF02
	s_mul_i32 s60, 4, s6                                       // 000000004B88: 923C0684
	s_cmp_lt_i32 1, s72                                        // 000000004B8C: BF044881
	s_cselect_b32 s60, s60, 0                                  // 000000004B90: 853C803C
	v_add_u32_e32 v1, s60, v1                                  // 000000004B94: 6802023C
	v_add_u32_e32 v2, s60, v2                                  // 000000004B98: 6804043C
	buffer_load_dword v192, v1, s[12:15], 0 idxen              // 000000004B9C: E0502000 8003C001
	buffer_load_dword v193, v2, s[12:15], 0 idxen              // 000000004BA4: E0502000 8003C102
	s_mul_i32 s60, 4, s6                                       // 000000004BAC: 923C0684
	s_cmp_lt_i32 1, s72                                        // 000000004BB0: BF044881
	s_cselect_b32 s60, s60, 0                                  // 000000004BB4: 853C803C
	v_add_u32_e32 v1, s60, v1                                  // 000000004BB8: 6802023C
	v_add_u32_e32 v2, s60, v2                                  // 000000004BBC: 6804043C
	buffer_load_dword v194, v1, s[12:15], 0 idxen              // 000000004BC0: E0502000 8003C201
	buffer_load_dword v195, v2, s[12:15], 0 idxen              // 000000004BC8: E0502000 8003C302
	s_mul_i32 s60, 4, s6                                       // 000000004BD0: 923C0684
	s_cmp_lt_i32 2, s72                                        // 000000004BD4: BF044882
	s_cselect_b32 s60, s60, 0                                  // 000000004BD8: 853C803C
	v_add_u32_e32 v1, s60, v1                                  // 000000004BDC: 6802023C
	v_add_u32_e32 v2, s60, v2                                  // 000000004BE0: 6804043C
	buffer_load_dword v196, v1, s[12:15], 0 idxen              // 000000004BE4: E0502000 8003C401
	buffer_load_dword v197, v2, s[12:15], 0 idxen              // 000000004BEC: E0502000 8003C502
	s_mul_i32 s60, 4, s6                                       // 000000004BF4: 923C0684
	s_cmp_lt_i32 2, s72                                        // 000000004BF8: BF044882
	s_cselect_b32 s60, s60, 0                                  // 000000004BFC: 853C803C
	v_add_u32_e32 v1, s60, v1                                  // 000000004C00: 6802023C
	v_add_u32_e32 v2, s60, v2                                  // 000000004C04: 6804043C
	buffer_load_dword v198, v1, s[12:15], 0 idxen              // 000000004C08: E0502000 8003C601
	buffer_load_dword v199, v2, s[12:15], 0 idxen              // 000000004C10: E0502000 8003C702
	s_mul_i32 s60, 4, s6                                       // 000000004C18: 923C0684
	s_cmp_lt_i32 2, s72                                        // 000000004C1C: BF044882
	s_cselect_b32 s60, s60, 0                                  // 000000004C20: 853C803C
	v_add_u32_e32 v1, s60, v1                                  // 000000004C24: 6802023C
	v_add_u32_e32 v2, s60, v2                                  // 000000004C28: 6804043C
	buffer_load_dword v200, v1, s[12:15], 0 idxen              // 000000004C2C: E0502000 8003C801
	buffer_load_dword v201, v2, s[12:15], 0 idxen              // 000000004C34: E0502000 8003C902
	s_mul_i32 s60, 4, s6                                       // 000000004C3C: 923C0684
	s_cmp_lt_i32 2, s72                                        // 000000004C40: BF044882
	s_cselect_b32 s60, s60, 0                                  // 000000004C44: 853C803C
	v_add_u32_e32 v1, s60, v1                                  // 000000004C48: 6802023C
	v_add_u32_e32 v2, s60, v2                                  // 000000004C4C: 6804043C
	buffer_load_dword v202, v1, s[12:15], 0 idxen              // 000000004C50: E0502000 8003CA01
	buffer_load_dword v203, v2, s[12:15], 0 idxen              // 000000004C58: E0502000 8003CB02
	s_mul_i32 s60, 4, s6                                       // 000000004C60: 923C0684
	s_cmp_lt_i32 3, s72                                        // 000000004C64: BF044883
	s_cselect_b32 s60, s60, 0                                  // 000000004C68: 853C803C
	v_add_u32_e32 v1, s60, v1                                  // 000000004C6C: 6802023C
	v_add_u32_e32 v2, s60, v2                                  // 000000004C70: 6804043C
	s_waitcnt vmcnt(16) lgkmcnt(0)                             // 000000004C74: BF8C4070
	s_barrier                                                  // 000000004C78: BF8A0000
	s_cmp_lt_i32 0, s72                                        // 000000004C7C: BF044880
	s_cbranch_scc1 label_0329                                  // 000000004C80: BF850008
	v_mov_b32_e32 v180, 0                                      // 000000004C84: 7F680280
	v_mov_b32_e32 v181, 0                                      // 000000004C88: 7F6A0280
	v_mov_b32_e32 v182, 0                                      // 000000004C8C: 7F6C0280
	v_mov_b32_e32 v183, 0                                      // 000000004C90: 7F6E0280
	v_mov_b32_e32 v184, 0                                      // 000000004C94: 7F700280
	v_mov_b32_e32 v185, 0                                      // 000000004C98: 7F720280
	v_mov_b32_e32 v186, 0                                      // 000000004C9C: 7F740280
	v_mov_b32_e32 v187, 0                                      // 000000004CA0: 7F760280

0000000000004ca4 <label_0329>:
	v_perm_b32 v204, v181, v180, s63                           // 000000004CA4: D1ED00CC 00FF69B5
	v_perm_b32 v205, v181, v180, s64                           // 000000004CAC: D1ED00CD 010369B5
	v_perm_b32 v206, v183, v182, s63                           // 000000004CB4: D1ED00CE 00FF6DB7
	v_perm_b32 v207, v183, v182, s64                           // 000000004CBC: D1ED00CF 01036DB7
	v_perm_b32 v208, v185, v184, s63                           // 000000004CC4: D1ED00D0 00FF71B9
	v_perm_b32 v209, v185, v184, s64                           // 000000004CCC: D1ED00D1 010371B9
	v_perm_b32 v210, v187, v186, s63                           // 000000004CD4: D1ED00D2 00FF75BB
	v_perm_b32 v211, v187, v186, s64                           // 000000004CDC: D1ED00D3 010375BB
	ds_write_b32 v15, v204 offset:8704                         // 000000004CE4: D81A2200 0000CC0F
	ds_write_b32 v15, v205 offset:9760                         // 000000004CEC: D81A2620 0000CD0F
	ds_write_b32 v15, v206 offset:10880                        // 000000004CF4: D81A2A80 0000CE0F
	ds_write_b32 v15, v207 offset:11936                        // 000000004CFC: D81A2EA0 0000CF0F
	ds_write_b32 v15, v208 offset:13056                        // 000000004D04: D81A3300 0000D00F
	ds_write_b32 v15, v209 offset:14112                        // 000000004D0C: D81A3720 0000D10F
	ds_write_b32 v15, v210 offset:15232                        // 000000004D14: D81A3B80 0000D20F
	ds_write_b32 v15, v211 offset:16288                        // 000000004D1C: D81A3FA0 0000D30F
	ds_write_b32 v13, v180                                     // 000000004D24: D81A0000 0000B40D
	ds_write_b32 v13, v181 offset:1056                         // 000000004D2C: D81A0420 0000B50D
	ds_write_b32 v13, v182 offset:2176                         // 000000004D34: D81A0880 0000B60D
	ds_write_b32 v13, v183 offset:3232                         // 000000004D3C: D81A0CA0 0000B70D
	ds_write_b32 v13, v184 offset:4352                         // 000000004D44: D81A1100 0000B80D
	ds_write_b32 v13, v185 offset:5408                         // 000000004D4C: D81A1520 0000B90D
	ds_write_b32 v13, v186 offset:6528                         // 000000004D54: D81A1980 0000BA0D
	ds_write_b32 v13, v187 offset:7584                         // 000000004D5C: D81A1DA0 0000BB0D
	buffer_load_dword v180, v228, s[16:19], 0 idxen            // 000000004D64: E0502000 8004B4E4
	buffer_load_dword v181, v229, s[16:19], 0 idxen            // 000000004D6C: E0502000 8004B5E5
	s_mul_i32 s60, 4, s7                                       // 000000004D74: 923C0784
	s_cmp_lt_i32 0, s72                                        // 000000004D78: BF044880
	s_cselect_b32 s60, s60, 0                                  // 000000004D7C: 853C803C
	v_add_u32_e32 v228, s60, v228                              // 000000004D80: 69C9C83C
	v_add_u32_e32 v229, s60, v229                              // 000000004D84: 69CBCA3C
	buffer_load_dword v182, v228, s[16:19], 0 idxen            // 000000004D88: E0502000 8004B6E4
	buffer_load_dword v183, v229, s[16:19], 0 idxen            // 000000004D90: E0502000 8004B7E5
	s_mul_i32 s60, 4, s7                                       // 000000004D98: 923C0784
	s_cmp_lt_i32 0, s72                                        // 000000004D9C: BF044880
	s_cselect_b32 s60, s60, 0                                  // 000000004DA0: 853C803C
	v_add_u32_e32 v228, s60, v228                              // 000000004DA4: 69C9C83C
	v_add_u32_e32 v229, s60, v229                              // 000000004DA8: 69CBCA3C
	buffer_load_dword v184, v228, s[16:19], 0 idxen            // 000000004DAC: E0502000 8004B8E4
	buffer_load_dword v185, v229, s[16:19], 0 idxen            // 000000004DB4: E0502000 8004B9E5
	s_mul_i32 s60, 4, s7                                       // 000000004DBC: 923C0784
	s_cmp_lt_i32 0, s72                                        // 000000004DC0: BF044880
	s_cselect_b32 s60, s60, 0                                  // 000000004DC4: 853C803C
	v_add_u32_e32 v228, s60, v228                              // 000000004DC8: 69C9C83C
	v_add_u32_e32 v229, s60, v229                              // 000000004DCC: 69CBCA3C
	buffer_load_dword v186, v228, s[16:19], 0 idxen            // 000000004DD0: E0502000 8004BAE4
	buffer_load_dword v187, v229, s[16:19], 0 idxen            // 000000004DD8: E0502000 8004BBE5
	s_mul_i32 s60, 4, s7                                       // 000000004DE0: 923C0784
	s_cmp_lt_i32 1, s72                                        // 000000004DE4: BF044881
	s_cselect_b32 s60, s60, 0                                  // 000000004DE8: 853C803C
	v_add_u32_e32 v228, s60, v228                              // 000000004DEC: 69C9C83C
	v_add_u32_e32 v229, s60, v229                              // 000000004DF0: 69CBCA3C
	s_waitcnt lgkmcnt(0)                                       // 000000004DF4: BF8CC07F
	s_barrier                                                  // 000000004DF8: BF8A0000
	ds_read_b128 a[24:27], v25 offset:8704                     // 000000004DFC: DBFE2200 18000019
	ds_read_b128 a[28:31], v25 offset:8960                     // 000000004E04: DBFE2300 1C000019
	ds_read_b128 a[32:35], v25 offset:13056                    // 000000004E0C: DBFE3300 20000019
	ds_read_b128 a[36:39], v25 offset:13312                    // 000000004E14: DBFE3400 24000019
	ds_read_b128 a[0:3], v24                                   // 000000004E1C: DBFE0000 00000018
	ds_read_b128 a[4:7], v24 offset:512                        // 000000004E24: DBFE0200 04000018
	s_waitcnt vmcnt(16) lgkmcnt(0)                             // 000000004E2C: BF8C4070
	s_barrier                                                  // 000000004E30: BF8A0000
	s_cmp_lt_i32 1, s72                                        // 000000004E34: BF044881
	s_cbranch_scc1 label_0397                                  // 000000004E38: BF850008
	v_mov_b32_e32 v188, 0                                      // 000000004E3C: 7F780280
	v_mov_b32_e32 v189, 0                                      // 000000004E40: 7F7A0280
	v_mov_b32_e32 v190, 0                                      // 000000004E44: 7F7C0280
	v_mov_b32_e32 v191, 0                                      // 000000004E48: 7F7E0280
	v_mov_b32_e32 v192, 0                                      // 000000004E4C: 7F800280
	v_mov_b32_e32 v193, 0                                      // 000000004E50: 7F820280
	v_mov_b32_e32 v194, 0                                      // 000000004E54: 7F840280
	v_mov_b32_e32 v195, 0                                      // 000000004E58: 7F860280

0000000000004e5c <label_0397>:
	v_perm_b32 v204, v189, v188, s63                           // 000000004E5C: D1ED00CC 00FF79BD
	v_perm_b32 v205, v189, v188, s64                           // 000000004E64: D1ED00CD 010379BD
	v_perm_b32 v206, v191, v190, s63                           // 000000004E6C: D1ED00CE 00FF7DBF
	v_perm_b32 v207, v191, v190, s64                           // 000000004E74: D1ED00CF 01037DBF
	v_perm_b32 v208, v193, v192, s63                           // 000000004E7C: D1ED00D0 00FF81C1
	v_perm_b32 v209, v193, v192, s64                           // 000000004E84: D1ED00D1 010381C1
	v_perm_b32 v210, v195, v194, s63                           // 000000004E8C: D1ED00D2 00FF85C3
	v_perm_b32 v211, v195, v194, s64                           // 000000004E94: D1ED00D3 010385C3
	ds_write_b32 v15, v204 offset:8704                         // 000000004E9C: D81A2200 0000CC0F
	ds_write_b32 v15, v205 offset:9760                         // 000000004EA4: D81A2620 0000CD0F
	ds_write_b32 v15, v206 offset:10880                        // 000000004EAC: D81A2A80 0000CE0F
	ds_write_b32 v15, v207 offset:11936                        // 000000004EB4: D81A2EA0 0000CF0F
	ds_write_b32 v15, v208 offset:13056                        // 000000004EBC: D81A3300 0000D00F
	ds_write_b32 v15, v209 offset:14112                        // 000000004EC4: D81A3720 0000D10F
	ds_write_b32 v15, v210 offset:15232                        // 000000004ECC: D81A3B80 0000D20F
	ds_write_b32 v15, v211 offset:16288                        // 000000004ED4: D81A3FA0 0000D30F
	ds_write_b32 v13, v188                                     // 000000004EDC: D81A0000 0000BC0D
	ds_write_b32 v13, v189 offset:1056                         // 000000004EE4: D81A0420 0000BD0D
	ds_write_b32 v13, v190 offset:2176                         // 000000004EEC: D81A0880 0000BE0D
	ds_write_b32 v13, v191 offset:3232                         // 000000004EF4: D81A0CA0 0000BF0D
	ds_write_b32 v13, v192 offset:4352                         // 000000004EFC: D81A1100 0000C00D
	ds_write_b32 v13, v193 offset:5408                         // 000000004F04: D81A1520 0000C10D
	ds_write_b32 v13, v194 offset:6528                         // 000000004F0C: D81A1980 0000C20D
	ds_write_b32 v13, v195 offset:7584                         // 000000004F14: D81A1DA0 0000C30D
	buffer_load_dword v188, v228, s[16:19], 0 idxen            // 000000004F1C: E0502000 8004BCE4
	buffer_load_dword v189, v229, s[16:19], 0 idxen            // 000000004F24: E0502000 8004BDE5
	s_mul_i32 s60, 4, s7                                       // 000000004F2C: 923C0784
	s_cmp_lt_i32 1, s72                                        // 000000004F30: BF044881
	s_cselect_b32 s60, s60, 0                                  // 000000004F34: 853C803C
	v_add_u32_e32 v228, s60, v228                              // 000000004F38: 69C9C83C
	v_add_u32_e32 v229, s60, v229                              // 000000004F3C: 69CBCA3C
	buffer_load_dword v190, v228, s[16:19], 0 idxen            // 000000004F40: E0502000 8004BEE4
	buffer_load_dword v191, v229, s[16:19], 0 idxen            // 000000004F48: E0502000 8004BFE5
	s_mul_i32 s60, 4, s7                                       // 000000004F50: 923C0784
	s_cmp_lt_i32 1, s72                                        // 000000004F54: BF044881
	s_cselect_b32 s60, s60, 0                                  // 000000004F58: 853C803C
	v_add_u32_e32 v228, s60, v228                              // 000000004F5C: 69C9C83C
	v_add_u32_e32 v229, s60, v229                              // 000000004F60: 69CBCA3C
	buffer_load_dword v192, v228, s[16:19], 0 idxen            // 000000004F64: E0502000 8004C0E4
	buffer_load_dword v193, v229, s[16:19], 0 idxen            // 000000004F6C: E0502000 8004C1E5
	s_mul_i32 s60, 4, s7                                       // 000000004F74: 923C0784
	s_cmp_lt_i32 1, s72                                        // 000000004F78: BF044881
	s_cselect_b32 s60, s60, 0                                  // 000000004F7C: 853C803C
	v_add_u32_e32 v228, s60, v228                              // 000000004F80: 69C9C83C
	v_add_u32_e32 v229, s60, v229                              // 000000004F84: 69CBCA3C
	buffer_load_dword v194, v228, s[16:19], 0 idxen            // 000000004F88: E0502000 8004C2E4
	buffer_load_dword v195, v229, s[16:19], 0 idxen            // 000000004F90: E0502000 8004C3E5
	s_mul_i32 s60, 4, s7                                       // 000000004F98: 923C0784
	s_cmp_lt_i32 2, s72                                        // 000000004F9C: BF044882
	s_cselect_b32 s60, s60, 0                                  // 000000004FA0: 853C803C
	v_add_u32_e32 v228, s60, v228                              // 000000004FA4: 69C9C83C
	v_add_u32_e32 v229, s60, v229                              // 000000004FA8: 69CBCA3C
	s_waitcnt lgkmcnt(0)                                       // 000000004FAC: BF8CC07F
	s_barrier                                                  // 000000004FB0: BF8A0000
	ds_read_b128 a[40:43], v25 offset:8704                     // 000000004FB4: DBFE2200 28000019
	ds_read_b128 a[44:47], v25 offset:8960                     // 000000004FBC: DBFE2300 2C000019
	ds_read_b128 a[48:51], v25 offset:13056                    // 000000004FC4: DBFE3300 30000019
	ds_read_b128 a[52:55], v25 offset:13312                    // 000000004FCC: DBFE3400 34000019
	ds_read_b128 a[8:11], v24                                  // 000000004FD4: DBFE0000 08000018
	ds_read_b128 a[12:15], v24 offset:512                      // 000000004FDC: DBFE0200 0C000018
	s_waitcnt vmcnt(16) lgkmcnt(0)                             // 000000004FE4: BF8C4070
	s_barrier                                                  // 000000004FE8: BF8A0000
	s_cmp_lt_i32 2, s72                                        // 000000004FEC: BF044882
	s_cbranch_scc1 label_0405                                  // 000000004FF0: BF850008
	v_mov_b32_e32 v196, 0                                      // 000000004FF4: 7F880280
	v_mov_b32_e32 v197, 0                                      // 000000004FF8: 7F8A0280
	v_mov_b32_e32 v198, 0                                      // 000000004FFC: 7F8C0280
	v_mov_b32_e32 v199, 0                                      // 000000005000: 7F8E0280
	v_mov_b32_e32 v200, 0                                      // 000000005004: 7F900280
	v_mov_b32_e32 v201, 0                                      // 000000005008: 7F920280
	v_mov_b32_e32 v202, 0                                      // 00000000500C: 7F940280
	v_mov_b32_e32 v203, 0                                      // 000000005010: 7F960280

0000000000005014 <label_0405>:
	v_perm_b32 v204, v197, v196, s63                           // 000000005014: D1ED00CC 00FF89C5
	v_perm_b32 v205, v197, v196, s64                           // 00000000501C: D1ED00CD 010389C5
	v_perm_b32 v206, v199, v198, s63                           // 000000005024: D1ED00CE 00FF8DC7
	v_perm_b32 v207, v199, v198, s64                           // 00000000502C: D1ED00CF 01038DC7
	v_perm_b32 v208, v201, v200, s63                           // 000000005034: D1ED00D0 00FF91C9
	v_perm_b32 v209, v201, v200, s64                           // 00000000503C: D1ED00D1 010391C9
	v_perm_b32 v210, v203, v202, s63                           // 000000005044: D1ED00D2 00FF95CB
	v_perm_b32 v211, v203, v202, s64                           // 00000000504C: D1ED00D3 010395CB
	ds_write_b32 v15, v204 offset:8704                         // 000000005054: D81A2200 0000CC0F
	ds_write_b32 v15, v205 offset:9760                         // 00000000505C: D81A2620 0000CD0F
	ds_write_b32 v15, v206 offset:10880                        // 000000005064: D81A2A80 0000CE0F
	ds_write_b32 v15, v207 offset:11936                        // 00000000506C: D81A2EA0 0000CF0F
	ds_write_b32 v15, v208 offset:13056                        // 000000005074: D81A3300 0000D00F
	ds_write_b32 v15, v209 offset:14112                        // 00000000507C: D81A3720 0000D10F
	ds_write_b32 v15, v210 offset:15232                        // 000000005084: D81A3B80 0000D20F
	ds_write_b32 v15, v211 offset:16288                        // 00000000508C: D81A3FA0 0000D30F
	ds_write_b32 v13, v196                                     // 000000005094: D81A0000 0000C40D
	ds_write_b32 v13, v197 offset:1056                         // 00000000509C: D81A0420 0000C50D
	ds_write_b32 v13, v198 offset:2176                         // 0000000050A4: D81A0880 0000C60D
	ds_write_b32 v13, v199 offset:3232                         // 0000000050AC: D81A0CA0 0000C70D
	ds_write_b32 v13, v200 offset:4352                         // 0000000050B4: D81A1100 0000C80D
	ds_write_b32 v13, v201 offset:5408                         // 0000000050BC: D81A1520 0000C90D
	ds_write_b32 v13, v202 offset:6528                         // 0000000050C4: D81A1980 0000CA0D
	ds_write_b32 v13, v203 offset:7584                         // 0000000050CC: D81A1DA0 0000CB0D
	buffer_load_dword v196, v228, s[16:19], 0 idxen            // 0000000050D4: E0502000 8004C4E4
	buffer_load_dword v197, v229, s[16:19], 0 idxen            // 0000000050DC: E0502000 8004C5E5
	s_mul_i32 s60, 4, s7                                       // 0000000050E4: 923C0784
	s_cmp_lt_i32 2, s72                                        // 0000000050E8: BF044882
	s_cselect_b32 s60, s60, 0                                  // 0000000050EC: 853C803C
	v_add_u32_e32 v228, s60, v228                              // 0000000050F0: 69C9C83C
	v_add_u32_e32 v229, s60, v229                              // 0000000050F4: 69CBCA3C
	buffer_load_dword v198, v228, s[16:19], 0 idxen            // 0000000050F8: E0502000 8004C6E4
	buffer_load_dword v199, v229, s[16:19], 0 idxen            // 000000005100: E0502000 8004C7E5
	s_mul_i32 s60, 4, s7                                       // 000000005108: 923C0784
	s_cmp_lt_i32 2, s72                                        // 00000000510C: BF044882
	s_cselect_b32 s60, s60, 0                                  // 000000005110: 853C803C
	v_add_u32_e32 v228, s60, v228                              // 000000005114: 69C9C83C
	v_add_u32_e32 v229, s60, v229                              // 000000005118: 69CBCA3C
	buffer_load_dword v200, v228, s[16:19], 0 idxen            // 00000000511C: E0502000 8004C8E4
	buffer_load_dword v201, v229, s[16:19], 0 idxen            // 000000005124: E0502000 8004C9E5
	s_mul_i32 s60, 4, s7                                       // 00000000512C: 923C0784
	s_cmp_lt_i32 2, s72                                        // 000000005130: BF044882
	s_cselect_b32 s60, s60, 0                                  // 000000005134: 853C803C
	v_add_u32_e32 v228, s60, v228                              // 000000005138: 69C9C83C
	v_add_u32_e32 v229, s60, v229                              // 00000000513C: 69CBCA3C
	buffer_load_dword v202, v228, s[16:19], 0 idxen            // 000000005140: E0502000 8004CAE4
	buffer_load_dword v203, v229, s[16:19], 0 idxen            // 000000005148: E0502000 8004CBE5
	s_mul_i32 s60, 4, s7                                       // 000000005150: 923C0784
	s_cmp_lt_i32 3, s72                                        // 000000005154: BF044883
	s_cselect_b32 s60, s60, 0                                  // 000000005158: 853C803C
	v_add_u32_e32 v228, s60, v228                              // 00000000515C: 69C9C83C
	v_add_u32_e32 v229, s60, v229                              // 000000005160: 69CBCA3C
	s_waitcnt lgkmcnt(0)                                       // 000000005164: BF8CC07F
	s_barrier                                                  // 000000005168: BF8A0000
	ds_read_b128 a[56:59], v25 offset:8704                     // 00000000516C: DBFE2200 38000019
	ds_read_b128 a[60:63], v25 offset:8960                     // 000000005174: DBFE2300 3C000019
	ds_read_b128 a[64:67], v25 offset:13056                    // 00000000517C: DBFE3300 40000019
	ds_read_b128 a[68:71], v25 offset:13312                    // 000000005184: DBFE3400 44000019
	ds_read_b128 a[16:19], v24                                 // 00000000518C: DBFE0000 10000018
	ds_read_b128 a[20:23], v24 offset:512                      // 000000005194: DBFE0200 14000018
	s_waitcnt vmcnt(16) lgkmcnt(0)                             // 00000000519C: BF8C4070
	s_barrier                                                  // 0000000051A0: BF8A0000
	s_cmp_lt_i32 0, s72                                        // 0000000051A4: BF044880
	s_cbranch_scc1 label_0473                                  // 0000000051A8: BF850008
	v_mov_b32_e32 v180, 0                                      // 0000000051AC: 7F680280
	v_mov_b32_e32 v181, 0                                      // 0000000051B0: 7F6A0280
	v_mov_b32_e32 v182, 0                                      // 0000000051B4: 7F6C0280
	v_mov_b32_e32 v183, 0                                      // 0000000051B8: 7F6E0280
	v_mov_b32_e32 v184, 0                                      // 0000000051BC: 7F700280
	v_mov_b32_e32 v185, 0                                      // 0000000051C0: 7F720280
	v_mov_b32_e32 v186, 0                                      // 0000000051C4: 7F740280
	v_mov_b32_e32 v187, 0                                      // 0000000051C8: 7F760280

00000000000051cc <label_0473>:
	ds_write_b32 v13, v180                                     // 0000000051CC: D81A0000 0000B40D
	ds_write_b32 v13, v181 offset:1056                         // 0000000051D4: D81A0420 0000B50D
	ds_write_b32 v13, v182 offset:2176                         // 0000000051DC: D81A0880 0000B60D
	ds_write_b32 v13, v183 offset:3232                         // 0000000051E4: D81A0CA0 0000B70D
	ds_write_b32 v13, v184 offset:4352                         // 0000000051EC: D81A1100 0000B80D
	ds_write_b32 v13, v185 offset:5408                         // 0000000051F4: D81A1520 0000B90D
	ds_write_b32 v13, v186 offset:6528                         // 0000000051FC: D81A1980 0000BA0D
	ds_write_b32 v13, v187 offset:7584                         // 000000005204: D81A1DA0 0000BB0D
	s_mov_b32 s71, s5                                          // 00000000520C: BEC70005
	v_lshrrev_b32_e32 v32, 4, v0                               // 000000005210: 20400084
	v_and_b32_e32 v33, 1, v32                                  // 000000005214: 26424081
	v_lshlrev_b32_e32 v33, 1, v33                              // 000000005218: 24424281
	v_mul_i32_i24_e32 v33, s71, v33                            // 00000000521C: 0C424247
	v_and_b32_e32 v34, 2, v32                                  // 000000005220: 26444082
	v_lshlrev_b32_e32 v34, 5, v34                              // 000000005224: 24444485
	v_add_u32_e32 v33, v34, v33                                // 000000005228: 68424322
	v_and_b32_e32 v32, 15, v0                                  // 00000000522C: 2640008F
	v_lshlrev_b32_e32 v32, 2, v32                              // 000000005230: 24404082
	v_add_u32_e32 v1, v32, v33                                 // 000000005234: 68024320
	s_mul_i32 s60, s46, s71                                    // 000000005238: 923C472E
	s_mul_i32 s60, s60, 4                                      // 00000000523C: 923C843C
	v_add_u32_e32 v1, s60, v1                                  // 000000005240: 6802023C
	v_add_u32_e32 v2, s71, v1                                  // 000000005244: 68040247
	s_mul_i32 s60, 16, s71                                     // 000000005248: 923C4790
	v_add_u32_e32 v3, s60, v1                                  // 00000000524C: 6806023C
	v_add_u32_e32 v4, s60, v2                                  // 000000005250: 6808043C
	s_mov_b32 s71, s51                                         // 000000005254: BEC70033
	v_lshrrev_b32_e32 v32, 4, v0                               // 000000005258: 20400084
	v_and_b32_e32 v33, 1, v32                                  // 00000000525C: 26424081
	v_lshlrev_b32_e32 v33, 1, v33                              // 000000005260: 24424281
	v_mul_i32_i24_e32 v33, s71, v33                            // 000000005264: 0C424247
	v_and_b32_e32 v34, 2, v32                                  // 000000005268: 26444082
	v_lshlrev_b32_e32 v34, 5, v34                              // 00000000526C: 24444485
	v_add_u32_e32 v33, v34, v33                                // 000000005270: 68424322
	v_and_b32_e32 v32, 15, v0                                  // 000000005274: 2640008F
	v_lshlrev_b32_e32 v32, 2, v32                              // 000000005278: 24404082
	v_add_u32_e32 v228, v32, v33                               // 00000000527C: 69C84320
	s_mul_i32 s60, s46, s71                                    // 000000005280: 923C472E
	s_mul_i32 s60, s60, 4                                      // 000000005284: 923C843C
	v_add_u32_e32 v228, s60, v228                              // 000000005288: 69C9C83C
	v_add_u32_e32 v229, s71, v228                              // 00000000528C: 69CBC847
	s_mul_i32 s60, 16, s71                                     // 000000005290: 923C4790
	v_add_u32_e32 v230, s60, v228                              // 000000005294: 69CDC83C
	v_add_u32_e32 v231, s60, v229                              // 000000005298: 69CFCA3C
	v_lshrrev_b32_e32 v1, 2, v1                                // 00000000529C: 20020282
	v_lshrrev_b32_e32 v2, 2, v2                                // 0000000052A0: 20040482
	v_lshrrev_b32_e32 v3, 2, v3                                // 0000000052A4: 20060682
	v_lshrrev_b32_e32 v4, 2, v4                                // 0000000052A8: 20080882
	v_lshrrev_b32_e32 v228, 2, v228                            // 0000000052AC: 21C9C882
	v_lshrrev_b32_e32 v229, 2, v229                            // 0000000052B0: 21CBCA82
	v_lshrrev_b32_e32 v230, 2, v230                            // 0000000052B4: 21CDCC82
	v_lshrrev_b32_e32 v231, 2, v231                            // 0000000052B8: 21CFCE82
	buffer_load_dword v36, v1, s[8:11], 0 idxen                // 0000000052BC: E0502000 80022401
	buffer_load_dword v37, v2, s[8:11], 0 idxen                // 0000000052C4: E0502000 80022502
	buffer_load_dword v38, v3, s[8:11], 0 idxen                // 0000000052CC: E0502000 80022603
	buffer_load_dword v39, v4, s[8:11], 0 idxen                // 0000000052D4: E0502000 80022704
	buffer_load_dword v44, v228, s[20:23], 0 idxen             // 0000000052DC: E0502000 80052CE4
	buffer_load_dword v45, v229, s[20:23], 0 idxen             // 0000000052E4: E0502000 80052DE5
	buffer_load_dword v46, v230, s[20:23], 0 idxen             // 0000000052EC: E0502000 80052EE6
	buffer_load_dword v47, v231, s[20:23], 0 idxen             // 0000000052F4: E0502000 80052FE7
	s_waitcnt lgkmcnt(0)                                       // 0000000052FC: BF8CC07F
	s_barrier                                                  // 000000005300: BF8A0000
	ds_read_b128 a[72:75], v24                                 // 000000005304: DBFE0000 48000018
	ds_read_b128 a[76:79], v24 offset:512                      // 00000000530C: DBFE0200 4C000018
	v_add_u32_e32 v1, s68, v1                                  // 000000005314: 68020244
	v_add_u32_e32 v2, s68, v2                                  // 000000005318: 68040444
	v_add_u32_e32 v3, s68, v3                                  // 00000000531C: 68060644
	v_add_u32_e32 v4, s68, v4                                  // 000000005320: 68080844
	v_add_u32_e32 v228, s100, v228                             // 000000005324: 69C9C864
	v_add_u32_e32 v229, s100, v229                             // 000000005328: 69CBCA64
	v_add_u32_e32 v230, s100, v230                             // 00000000532C: 69CDCC64
	v_add_u32_e32 v231, s100, v231                             // 000000005330: 69CFCE64
	s_waitcnt vmcnt(16) lgkmcnt(0)                             // 000000005334: BF8C4070
	s_barrier                                                  // 000000005338: BF8A0000
	s_cmp_lt_i32 1, s72                                        // 00000000533C: BF044881
	s_cbranch_scc1 label_04D9                                  // 000000005340: BF850008
	v_mov_b32_e32 v188, 0                                      // 000000005344: 7F780280
	v_mov_b32_e32 v189, 0                                      // 000000005348: 7F7A0280
	v_mov_b32_e32 v190, 0                                      // 00000000534C: 7F7C0280
	v_mov_b32_e32 v191, 0                                      // 000000005350: 7F7E0280
	v_mov_b32_e32 v192, 0                                      // 000000005354: 7F800280
	v_mov_b32_e32 v193, 0                                      // 000000005358: 7F820280
	v_mov_b32_e32 v194, 0                                      // 00000000535C: 7F840280
	v_mov_b32_e32 v195, 0                                      // 000000005360: 7F860280

0000000000005364 <label_04D9>:
	ds_write_b32 v13, v188                                     // 000000005364: D81A0000 0000BC0D
	ds_write_b32 v13, v189 offset:1056                         // 00000000536C: D81A0420 0000BD0D
	ds_write_b32 v13, v190 offset:2176                         // 000000005374: D81A0880 0000BE0D
	ds_write_b32 v13, v191 offset:3232                         // 00000000537C: D81A0CA0 0000BF0D
	ds_write_b32 v13, v192 offset:4352                         // 000000005384: D81A1100 0000C00D
	ds_write_b32 v13, v193 offset:5408                         // 00000000538C: D81A1520 0000C10D
	ds_write_b32 v13, v194 offset:6528                         // 000000005394: D81A1980 0000C20D
	ds_write_b32 v13, v195 offset:7584                         // 00000000539C: D81A1DA0 0000C30D
	buffer_load_dword v40, v1, s[8:11], 0 idxen                // 0000000053A4: E0502000 80022801
	buffer_load_dword v41, v2, s[8:11], 0 idxen                // 0000000053AC: E0502000 80022902
	buffer_load_dword v42, v3, s[8:11], 0 idxen                // 0000000053B4: E0502000 80022A03
	buffer_load_dword v43, v4, s[8:11], 0 idxen                // 0000000053BC: E0502000 80022B04
	buffer_load_dword v48, v228, s[20:23], 0 idxen             // 0000000053C4: E0502000 800530E4
	buffer_load_dword v49, v229, s[20:23], 0 idxen             // 0000000053CC: E0502000 800531E5
	buffer_load_dword v50, v230, s[20:23], 0 idxen             // 0000000053D4: E0502000 800532E6
	buffer_load_dword v51, v231, s[20:23], 0 idxen             // 0000000053DC: E0502000 800533E7
	s_waitcnt lgkmcnt(0)                                       // 0000000053E4: BF8CC07F
	s_barrier                                                  // 0000000053E8: BF8A0000
	ds_read_b128 a[80:83], v24                                 // 0000000053EC: DBFE0000 50000018
	ds_read_b128 a[84:87], v24 offset:512                      // 0000000053F4: DBFE0200 54000018
	s_add_u32 s60, 64, s59                                     // 0000000053FC: 803C3BC0
	s_cmp_lt_u32 s60, s58                                      // 000000005400: BF0A3A3C
	s_cselect_b32 s68, s68, 0                                  // 000000005404: 85448044
	s_cselect_b32 s100, s100, 0                                // 000000005408: 85648064
	v_add_u32_e32 v1, s68, v1                                  // 00000000540C: 68020244
	v_add_u32_e32 v2, s68, v2                                  // 000000005410: 68040444
	v_add_u32_e32 v3, s68, v3                                  // 000000005414: 68060644
	;; [unrolled: 1-line block ×3, first 2 shown]
	v_add_u32_e32 v228, s100, v228                             // 00000000541C: 69C9C864
	v_add_u32_e32 v229, s100, v229                             // 000000005420: 69CBCA64
	v_add_u32_e32 v230, s100, v230                             // 000000005424: 69CDCC64
	v_add_u32_e32 v231, s100, v231                             // 000000005428: 69CFCE64
	s_waitcnt vmcnt(16) lgkmcnt(0)                             // 00000000542C: BF8C4070
	s_barrier                                                  // 000000005430: BF8A0000
	s_cmp_lt_i32 2, s72                                        // 000000005434: BF044882
	s_cbranch_scc1 label_0517                                  // 000000005438: BF850008
	v_mov_b32_e32 v196, 0                                      // 00000000543C: 7F880280
	v_mov_b32_e32 v197, 0                                      // 000000005440: 7F8A0280
	v_mov_b32_e32 v198, 0                                      // 000000005444: 7F8C0280
	v_mov_b32_e32 v199, 0                                      // 000000005448: 7F8E0280
	v_mov_b32_e32 v200, 0                                      // 00000000544C: 7F900280
	v_mov_b32_e32 v201, 0                                      // 000000005450: 7F920280
	v_mov_b32_e32 v202, 0                                      // 000000005454: 7F940280
	v_mov_b32_e32 v203, 0                                      // 000000005458: 7F960280

000000000000545c <label_0517>:
	ds_write_b32 v13, v196                                     // 00000000545C: D81A0000 0000C40D
	ds_write_b32 v13, v197 offset:1056                         // 000000005464: D81A0420 0000C50D
	ds_write_b32 v13, v198 offset:2176                         // 00000000546C: D81A0880 0000C60D
	ds_write_b32 v13, v199 offset:3232                         // 000000005474: D81A0CA0 0000C70D
	ds_write_b32 v13, v200 offset:4352                         // 00000000547C: D81A1100 0000C80D
	ds_write_b32 v13, v201 offset:5408                         // 000000005484: D81A1520 0000C90D
	ds_write_b32 v13, v202 offset:6528                         // 00000000548C: D81A1980 0000CA0D
	ds_write_b32 v13, v203 offset:7584                         // 000000005494: D81A1DA0 0000CB0D
	s_waitcnt lgkmcnt(0)                                       // 00000000549C: BF8CC07F
	s_barrier                                                  // 0000000054A0: BF8A0000
	ds_read_b128 a[88:91], v24                                 // 0000000054A4: DBFE0000 58000018
	ds_read_b128 a[92:95], v24 offset:512                      // 0000000054AC: DBFE0200 5C000018
	s_waitcnt vmcnt(8) lgkmcnt(0)                              // 0000000054B4: BF8C0078
	s_barrier                                                  // 0000000054B8: BF8A0000
	buffer_load_dword v11, s[24:27], 0 idxen lds               // 0000000054BC: E0512000 8006000B
	s_mov_b32 m0, s79                                          // 0000000054C4: BEFC004F
	v_add_u32_e32 v11, s69, v11                                // 0000000054C8: 68161645
	v_perm_b32 v100, v37, v36, s63                             // 0000000054CC: D1ED0064 00FE4925
	v_perm_b32 v101, v37, v36, s64                             // 0000000054D4: D1ED0065 01024925
	v_perm_b32 v102, v39, v38, s63                             // 0000000054DC: D1ED0066 00FE4D27
	v_perm_b32 v103, v39, v38, s64                             // 0000000054E4: D1ED0067 01024D27
	ds_write_b32 v15, v100 offset:4352                         // 0000000054EC: D81A1100 0000640F
	ds_write_b32 v15, v101 offset:5408                         // 0000000054F4: D81A1520 0000650F
	ds_write_b32 v15, v102 offset:6528                         // 0000000054FC: D81A1980 0000660F
	ds_write_b32 v15, v103 offset:7584                         // 000000005504: D81A1DA0 0000670F
	ds_write_b32 v13, v36                                      // 00000000550C: D81A0000 0000240D
	ds_write_b32 v13, v37 offset:1056                          // 000000005514: D81A0420 0000250D
	ds_write_b32 v13, v38 offset:2176                          // 00000000551C: D81A0880 0000260D
	ds_write_b32 v13, v39 offset:3232                          // 000000005524: D81A0CA0 0000270D
	buffer_load_dword v11, s[24:27], 0 idxen lds               // 00000000552C: E0512000 8006000B
	s_add_u32 s60, 64, s59                                     // 000000005534: 803C3BC0
	s_cmp_lt_u32 s60, s58                                      // 000000005538: BF0A3A3C
	s_cselect_b32 s69, s69, 0                                  // 00000000553C: 85458045
	s_mov_b32 m0, s78                                          // 000000005540: BEFC004E
	v_add_u32_e32 v11, s69, v11                                // 000000005544: 68161645
	v_perm_b32 v104, v45, v44, s63                             // 000000005548: D1ED0068 00FE592D
	v_perm_b32 v105, v45, v44, s64                             // 000000005550: D1ED0069 0102592D
	v_perm_b32 v106, v47, v46, s63                             // 000000005558: D1ED006A 00FE5D2F
	v_perm_b32 v107, v47, v46, s64                             // 000000005560: D1ED006B 01025D2F
	ds_write_b32 v15, v104 offset:13056                        // 000000005568: D81A3300 0000680F
	ds_write_b32 v15, v105 offset:14112                        // 000000005570: D81A3720 0000690F
	ds_write_b32 v15, v106 offset:15232                        // 000000005578: D81A3B80 00006A0F
	ds_write_b32 v15, v107 offset:16288                        // 000000005580: D81A3FA0 00006B0F
	ds_write_b32 v13, v44 offset:8704                          // 000000005588: D81A2200 00002C0D
	ds_write_b32 v13, v45 offset:9760                          // 000000005590: D81A2620 00002D0D
	ds_write_b32 v13, v46 offset:10880                         // 000000005598: D81A2A80 00002E0D
	ds_write_b32 v13, v47 offset:11936                         // 0000000055A0: D81A2EA0 00002F0D
	s_waitcnt vmcnt(1) lgkmcnt(0)                              // 0000000055A8: BF8C0071
	s_barrier                                                  // 0000000055AC: BF8A0000
	ds_read_b128 a[96:99], v12                                 // 0000000055B0: DBFE0000 6000000C
	ds_read_b128 a[100:103], v12 offset:512                    // 0000000055B8: DBFE0200 6400000C
	ds_read_b128 a[104:107], v12 offset:2176                   // 0000000055C0: DBFE0880 6800000C
	ds_read_b128 a[108:111], v12 offset:2688                   // 0000000055C8: DBFE0A80 6C00000C
	ds_read_b128 v[108:111], v12 offset:8704                   // 0000000055D0: D9FE2200 6C00000C
	ds_read_b128 v[112:115], v12 offset:9216                   // 0000000055D8: D9FE2400 7000000C
	ds_read_b128 v[116:119], v12 offset:10880                  // 0000000055E0: D9FE2A80 7400000C
	ds_read_b128 v[120:123], v12 offset:11392                  // 0000000055E8: D9FE2C80 7800000C
	ds_read_b32 v140, v23 offset:39424                         // 0000000055F0: D86C9A00 8C000017
	ds_read_b32 v144, v23 offset:39488                         // 0000000055F8: D86C9A40 90000017
	ds_read_b32 v176, v23 offset:39680                         // 000000005600: D86C9B00 B0000017
	ds_read_b32 v177, v23 offset:39744                         // 000000005608: D86C9B40 B1000017
	v_accvgpr_write_b32 a112, 0                                // 000000005610: D3D94070 18000080
	v_mov_b32_e32 v180, 0                                      // 000000005618: 7F680280
	v_accvgpr_write_b32 a113, 0                                // 00000000561C: D3D94071 18000080
	v_mov_b32_e32 v181, 0                                      // 000000005624: 7F6A0280
	v_accvgpr_write_b32 a114, 0                                // 000000005628: D3D94072 18000080
	v_mov_b32_e32 v182, 0                                      // 000000005630: 7F6C0280
	v_accvgpr_write_b32 a115, 0                                // 000000005634: D3D94073 18000080
	v_mov_b32_e32 v183, 0                                      // 00000000563C: 7F6E0280
	v_accvgpr_write_b32 a116, 0                                // 000000005640: D3D94074 18000080
	v_mov_b32_e32 v184, 0                                      // 000000005648: 7F700280
	v_accvgpr_write_b32 a117, 0                                // 00000000564C: D3D94075 18000080
	v_mov_b32_e32 v185, 0                                      // 000000005654: 7F720280
	v_accvgpr_write_b32 a118, 0                                // 000000005658: D3D94076 18000080
	v_mov_b32_e32 v186, 0                                      // 000000005660: 7F740280
	v_accvgpr_write_b32 a119, 0                                // 000000005664: D3D94077 18000080
	v_mov_b32_e32 v187, 0                                      // 00000000566C: 7F760280
	v_accvgpr_write_b32 a120, 0                                // 000000005670: D3D94078 18000080
	v_mov_b32_e32 v188, 0                                      // 000000005678: 7F780280
	v_accvgpr_write_b32 a121, 0                                // 00000000567C: D3D94079 18000080
	v_mov_b32_e32 v189, 0                                      // 000000005684: 7F7A0280
	v_accvgpr_write_b32 a122, 0                                // 000000005688: D3D9407A 18000080
	v_mov_b32_e32 v190, 0                                      // 000000005690: 7F7C0280
	v_accvgpr_write_b32 a123, 0                                // 000000005694: D3D9407B 18000080
	v_mov_b32_e32 v191, 0                                      // 00000000569C: 7F7E0280
	v_accvgpr_write_b32 a124, 0                                // 0000000056A0: D3D9407C 18000080
	v_mov_b32_e32 v192, 0                                      // 0000000056A8: 7F800280
	v_accvgpr_write_b32 a125, 0                                // 0000000056AC: D3D9407D 18000080
	v_mov_b32_e32 v193, 0                                      // 0000000056B4: 7F820280
	v_accvgpr_write_b32 a126, 0                                // 0000000056B8: D3D9407E 18000080
	v_mov_b32_e32 v194, 0                                      // 0000000056C0: 7F840280
	v_accvgpr_write_b32 a127, 0                                // 0000000056C4: D3D9407F 18000080
	v_mov_b32_e32 v195, 0                                      // 0000000056CC: 7F860280
	v_accvgpr_write_b32 a128, 0                                // 0000000056D0: D3D94080 18000080
	v_mov_b32_e32 v196, 0                                      // 0000000056D8: 7F880280
	v_accvgpr_write_b32 a129, 0                                // 0000000056DC: D3D94081 18000080
	v_mov_b32_e32 v197, 0                                      // 0000000056E4: 7F8A0280
	v_accvgpr_write_b32 a130, 0                                // 0000000056E8: D3D94082 18000080
	v_mov_b32_e32 v198, 0                                      // 0000000056F0: 7F8C0280
	v_accvgpr_write_b32 a131, 0                                // 0000000056F4: D3D94083 18000080
	v_mov_b32_e32 v199, 0                                      // 0000000056FC: 7F8E0280
	v_accvgpr_write_b32 a132, 0                                // 000000005700: D3D94084 18000080
	v_mov_b32_e32 v200, 0                                      // 000000005708: 7F900280
	v_accvgpr_write_b32 a133, 0                                // 00000000570C: D3D94085 18000080
	v_mov_b32_e32 v201, 0                                      // 000000005714: 7F920280
	v_accvgpr_write_b32 a134, 0                                // 000000005718: D3D94086 18000080
	v_mov_b32_e32 v202, 0                                      // 000000005720: 7F940280
	v_accvgpr_write_b32 a135, 0                                // 000000005724: D3D94087 18000080
	v_mov_b32_e32 v203, 0                                      // 00000000572C: 7F960280
	v_accvgpr_write_b32 a136, 0                                // 000000005730: D3D94088 18000080
	v_mov_b32_e32 v204, 0                                      // 000000005738: 7F980280
	v_accvgpr_write_b32 a137, 0                                // 00000000573C: D3D94089 18000080
	v_mov_b32_e32 v205, 0                                      // 000000005744: 7F9A0280
	v_accvgpr_write_b32 a138, 0                                // 000000005748: D3D9408A 18000080
	v_mov_b32_e32 v206, 0                                      // 000000005750: 7F9C0280
	v_accvgpr_write_b32 a139, 0                                // 000000005754: D3D9408B 18000080
	v_mov_b32_e32 v207, 0                                      // 00000000575C: 7F9E0280
	v_accvgpr_write_b32 a140, 0                                // 000000005760: D3D9408C 18000080
	v_mov_b32_e32 v208, 0                                      // 000000005768: 7FA00280
	v_accvgpr_write_b32 a141, 0                                // 00000000576C: D3D9408D 18000080
	v_mov_b32_e32 v209, 0                                      // 000000005774: 7FA20280
	v_accvgpr_write_b32 a142, 0                                // 000000005778: D3D9408E 18000080
	v_mov_b32_e32 v210, 0                                      // 000000005780: 7FA40280
	v_accvgpr_write_b32 a143, 0                                // 000000005784: D3D9408F 18000080
	v_mov_b32_e32 v211, 0                                      // 00000000578C: 7FA60280
	v_accvgpr_write_b32 a144, 0                                // 000000005790: D3D94090 18000080
	v_mov_b32_e32 v212, 0                                      // 000000005798: 7FA80280
	v_accvgpr_write_b32 a145, 0                                // 00000000579C: D3D94091 18000080
	v_mov_b32_e32 v213, 0                                      // 0000000057A4: 7FAA0280
	v_accvgpr_write_b32 a146, 0                                // 0000000057A8: D3D94092 18000080
	v_mov_b32_e32 v214, 0                                      // 0000000057B0: 7FAC0280
	v_accvgpr_write_b32 a147, 0                                // 0000000057B4: D3D94093 18000080
	v_mov_b32_e32 v215, 0                                      // 0000000057BC: 7FAE0280
	v_accvgpr_write_b32 a148, 0                                // 0000000057C0: D3D94094 18000080
	v_mov_b32_e32 v216, 0                                      // 0000000057C8: 7FB00280
	v_accvgpr_write_b32 a149, 0                                // 0000000057CC: D3D94095 18000080
	v_mov_b32_e32 v217, 0                                      // 0000000057D4: 7FB20280
	v_accvgpr_write_b32 a150, 0                                // 0000000057D8: D3D94096 18000080
	v_mov_b32_e32 v218, 0                                      // 0000000057E0: 7FB40280
	v_accvgpr_write_b32 a151, 0                                // 0000000057E4: D3D94097 18000080
	v_mov_b32_e32 v219, 0                                      // 0000000057EC: 7FB60280
	v_accvgpr_write_b32 a152, 0                                // 0000000057F0: D3D94098 18000080
	v_mov_b32_e32 v220, 0                                      // 0000000057F8: 7FB80280
	v_accvgpr_write_b32 a153, 0                                // 0000000057FC: D3D94099 18000080
	v_mov_b32_e32 v221, 0                                      // 000000005804: 7FBA0280
	v_accvgpr_write_b32 a154, 0                                // 000000005808: D3D9409A 18000080
	v_mov_b32_e32 v222, 0                                      // 000000005810: 7FBC0280
	v_accvgpr_write_b32 a155, 0                                // 000000005814: D3D9409B 18000080
	v_mov_b32_e32 v223, 0                                      // 00000000581C: 7FBE0280
	v_accvgpr_write_b32 a156, 0                                // 000000005820: D3D9409C 18000080
	v_mov_b32_e32 v224, 0                                      // 000000005828: 7FC00280
	v_accvgpr_write_b32 a157, 0                                // 00000000582C: D3D9409D 18000080
	v_mov_b32_e32 v225, 0                                      // 000000005834: 7FC20280
	v_accvgpr_write_b32 a158, 0                                // 000000005838: D3D9409E 18000080
	v_mov_b32_e32 v226, 0                                      // 000000005840: 7FC40280
	v_accvgpr_write_b32 a159, 0                                // 000000005844: D3D9409F 18000080
	v_mov_b32_e32 v227, 0                                      // 00000000584C: 7FC60280
	v_mov_b32_e32 v156, 0                                      // 000000005850: 7F380280
	v_mov_b32_e32 v157, 0                                      // 000000005854: 7F3A0280
	v_mov_b32_e32 v158, 0                                      // 000000005858: 7F3C0280
	v_mov_b32_e32 v159, 0                                      // 00000000585C: 7F3E0280
	v_mov_b32_e32 v160, 0                                      // 000000005860: 7F400280
	v_mov_b32_e32 v161, 0                                      // 000000005864: 7F420280
	v_mov_b32_e32 v162, 0                                      // 000000005868: 7F440280
	v_mov_b32_e32 v163, 0                                      // 00000000586C: 7F460280
	v_mov_b32_e32 v148, 0                                      // 000000005870: 7F280280
	v_mov_b32_e32 v149, 0                                      // 000000005874: 7F2A0280
	v_mov_b32_e32 v150, 0                                      // 000000005878: 7F2C0280
	v_mov_b32_e32 v151, 0                                      // 00000000587C: 7F2E0280
	v_mov_b32_e32 v152, 0                                      // 000000005880: 7F300280
	v_mov_b32_e32 v153, 0                                      // 000000005884: 7F320280
	v_mov_b32_e32 v154, 0                                      // 000000005888: 7F340280
	v_mov_b32_e32 v155, 0                                      // 00000000588C: 7F360280
	s_waitcnt lgkmcnt(0)                                       // 000000005890: BF8CC07F
	s_barrier                                                  // 000000005894: BF8A0000
	buffer_load_dword v36, v1, s[8:11], 0 idxen                // 000000005898: E0502000 80022401
	buffer_load_dword v37, v2, s[8:11], 0 idxen                // 0000000058A0: E0502000 80022502
	buffer_load_dword v38, v3, s[8:11], 0 idxen                // 0000000058A8: E0502000 80022603
	buffer_load_dword v39, v4, s[8:11], 0 idxen                // 0000000058B0: E0502000 80022704
	buffer_load_dword v44, v228, s[20:23], 0 idxen             // 0000000058B8: E0502000 80052CE4
	buffer_load_dword v45, v229, s[20:23], 0 idxen             // 0000000058C0: E0502000 80052DE5
	buffer_load_dword v46, v230, s[20:23], 0 idxen             // 0000000058C8: E0502000 80052EE6
	buffer_load_dword v47, v231, s[20:23], 0 idxen             // 0000000058D0: E0502000 80052FE7
	buffer_load_dword v11, s[24:27], 0 idxen lds               // 0000000058D8: E0512000 8006000B
	s_add_u32 s60, 0x60, s59                                   // 0000000058E0: 803C3BFF 00000060
	s_cmp_lt_u32 s60, s58                                      // 0000000058E8: BF0A3A3C
	s_cselect_b32 s68, s68, 0                                  // 0000000058EC: 85448044
	s_cselect_b32 s100, s100, 0                                // 0000000058F0: 85648064
	s_cselect_b32 s69, s69, 0                                  // 0000000058F4: 85458045
	s_mov_b32 m0, s79                                          // 0000000058F8: BEFC004F
	v_add_u32_e32 v11, s69, v11                                // 0000000058FC: 68161645
	v_add_u32_e32 v1, s68, v1                                  // 000000005900: 68020244
	v_add_u32_e32 v2, s68, v2                                  // 000000005904: 68040444
	v_add_u32_e32 v3, s68, v3                                  // 000000005908: 68060644
	v_add_u32_e32 v4, s68, v4                                  // 00000000590C: 68080844
	v_add_u32_e32 v228, s100, v228                             // 000000005910: 69C9C864
	v_add_u32_e32 v229, s100, v229                             // 000000005914: 69CBCA64
	v_add_u32_e32 v230, s100, v230                             // 000000005918: 69CDCC64
	v_add_u32_e32 v231, s100, v231                             // 00000000591C: 69CFCE64
	v_mul_f32_e32 v140, s48, v140                              // 000000005920: 0B191830
	v_mul_f32_e32 v144, s48, v144                              // 000000005924: 0B212030
	v_perm_b32 v100, v41, v40, s63                             // 000000005928: D1ED0064 00FE5129
	v_perm_b32 v101, v41, v40, s64                             // 000000005930: D1ED0065 01025129
	v_perm_b32 v102, v43, v42, s63                             // 000000005938: D1ED0066 00FE552B
	v_perm_b32 v103, v43, v42, s64                             // 000000005940: D1ED0067 0102552B
	v_perm_b32 v104, v49, v48, s63                             // 000000005948: D1ED0068 00FE6131
	v_perm_b32 v105, v49, v48, s64                             // 000000005950: D1ED0069 01026131
	v_perm_b32 v106, v51, v50, s63                             // 000000005958: D1ED006A 00FE6533
	v_perm_b32 v107, v51, v50, s64                             // 000000005960: D1ED006B 01026533
	v_mov_b32_dpp v143, v140 quad_perm:[3,3,3,3] row_mask:0xf bank_mask:0xf// 000000005968: 7F1E02FA FF00FF8C
	v_mov_b32_dpp v142, v140 quad_perm:[2,2,2,2] row_mask:0xf bank_mask:0xf// 000000005970: 7F1C02FA FF00AA8C
	v_mov_b32_dpp v141, v140 quad_perm:[1,1,1,1] row_mask:0xf bank_mask:0xf// 000000005978: 7F1A02FA FF00558C
	v_mov_b32_dpp v140, v140 quad_perm:[0,0,0,0] row_mask:0xf bank_mask:0xf// 000000005980: 7F1802FA FF00008C
	v_mov_b32_dpp v147, v144 quad_perm:[3,3,3,3] row_mask:0xf bank_mask:0xf// 000000005988: 7F2602FA FF00FF90
	v_mov_b32_dpp v146, v144 quad_perm:[2,2,2,2] row_mask:0xf bank_mask:0xf// 000000005990: 7F2402FA FF00AA90
	v_mov_b32_dpp v145, v144 quad_perm:[1,1,1,1] row_mask:0xf bank_mask:0xf// 000000005998: 7F2202FA FF005590
	v_mov_b32_dpp v144, v144 quad_perm:[0,0,0,0] row_mask:0xf bank_mask:0xf// 0000000059A0: 7F2002FA FF000090
	s_waitcnt vmcnt(9)                                         // 0000000059A8: BF8C0F79
	s_barrier                                                  // 0000000059AC: BF8A0000
	s_cmp_lt_i32 s46, 2                                        // 0000000059B0: BF04822E
	s_cbranch_scc0 label_0E0E                                  // 0000000059B4: BF84078E
	s_nop 0                                                    // 0000000059B8: BF800000
	s_nop 0                                                    // 0000000059BC: BF800000

00000000000059c0 <label_0670>:
	s_waitcnt lgkmcnt(4)                                       // 0000000059C0: BF8CC47F
	s_barrier                                                  // 0000000059C4: BF8A0000
	v_mfma_f32_16x16x16_f16 v[52:55], a[96:97], a[0:1], 0      // 0000000059C8: D3CD0034 1A020160
	ds_write_b32 v13, v48 offset:8704                          // 0000000059D0: D81A2200 0000300D
	ds_write_b32 v13, v49 offset:9760                          // 0000000059D8: D81A2620 0000310D
	v_mfma_f32_16x16x16_f16 v[52:55], a[98:99], a[2:3], v[52:55]// 0000000059E0: D3CD0034 1CD20562
	v_mul_f32_e32 v148, s47, v148                              // 0000000059E8: 0B29282F
	v_mul_f32_e32 v149, s47, v149                              // 0000000059EC: 0B2B2A2F
	v_mfma_f32_16x16x16_f16 v[52:55], a[100:101], a[4:5], v[52:55]// 0000000059F0: D3CD0034 1CD20964
	ds_write_b32 v13, v50 offset:10880                         // 0000000059F8: D81A2A80 0000320D
	ds_write_b32 v13, v51 offset:11936                         // 000000005A00: D81A2EA0 0000330D
	v_mfma_f32_16x16x16_f16 v[52:55], a[102:103], a[6:7], v[52:55]// 000000005A08: D3CD0034 1CD20D66
	v_mul_f32_e32 v150, s47, v150                              // 000000005A10: 0B2D2C2F
	v_mul_f32_e32 v151, s47, v151                              // 000000005A14: 0B2F2E2F
	v_mfma_f32_16x16x16_f16 v[56:59], a[96:97], a[8:9], 0      // 000000005A18: D3CD0038 1A021160
	ds_write_b64 v22, v[148:149] offset:31232                  // 000000005A20: D89A7A00 00009416
	v_mfma_f32_16x16x16_f16 v[56:59], a[98:99], a[10:11], v[56:59]// 000000005A28: D3CD0038 1CE21562
	v_mul_f32_e32 v152, s47, v152                              // 000000005A30: 0B31302F
	v_mul_f32_e32 v153, s47, v153                              // 000000005A34: 0B33322F
	v_mfma_f32_16x16x16_f16 v[56:59], a[100:101], a[12:13], v[56:59]// 000000005A38: D3CD0038 1CE21964
	ds_write_b64 v22, v[150:151] offset:31744                  // 000000005A40: D89A7C00 00009616
	v_mfma_f32_16x16x16_f16 v[56:59], a[102:103], a[14:15], v[56:59]// 000000005A48: D3CD0038 1CE21D66
	v_mul_f32_e32 v154, s47, v154                              // 000000005A50: 0B35342F
	v_mul_f32_e32 v155, s47, v155                              // 000000005A54: 0B37362F
	v_mfma_f32_16x16x16_f16 v[60:63], a[96:97], a[16:17], 0    // 000000005A58: D3CD003C 1A022160
	ds_write_b64 v22, v[152:153] offset:32256                  // 000000005A60: D89A7E00 00009816
	v_mfma_f32_16x16x16_f16 v[60:63], a[98:99], a[18:19], v[60:63]// 000000005A68: D3CD003C 1CF22562
	buffer_atomic_add_f32 v160, v8, s[32:35], 0 idxen          // 000000005A70: E1342000 8008A008
	v_mfma_f32_16x16x16_f16 v[60:63], a[100:101], a[20:21], v[60:63]// 000000005A78: D3CD003C 1CF22964
	ds_write_b64 v22, v[154:155] offset:32768                  // 000000005A80: D89A8000 00009A16
	v_mfma_f32_16x16x16_f16 v[60:63], a[102:103], a[22:23], v[60:63]// 000000005A88: D3CD003C 1CF22D66
	v_mfma_f32_16x16x16_f16 v[64:67], a[104:105], a[0:1], 0    // 000000005A90: D3CD0040 1A020168
	ds_read_b128 v[124:127], v14 offset:13056                  // 000000005A98: D9FE3300 7C00000E
	ds_write_b32 v13, v40                                      // 000000005AA0: D81A0000 0000280D
	v_mfma_f32_16x16x16_f16 v[64:67], a[106:107], a[2:3], v[64:67]// 000000005AA8: D3CD0040 1D02056A
	buffer_atomic_add_f32 v161, v9, s[32:35], 0 idxen          // 000000005AB0: E1342000 8008A109
	v_mfma_f32_16x16x16_f16 v[64:67], a[108:109], a[4:5], v[64:67]// 000000005AB8: D3CD0040 1D02096C
	v_mfma_f32_16x16x16_f16 v[64:67], a[110:111], a[6:7], v[64:67]// 000000005AC0: D3CD0040 1D020D6E
	ds_read_b128 v[128:131], v14 offset:13568                  // 000000005AC8: D9FE3500 8000000E
	ds_write_b32 v13, v41 offset:1056                          // 000000005AD0: D81A0420 0000290D
	v_mfma_f32_16x16x16_f16 v[68:71], a[104:105], a[8:9], 0    // 000000005AD8: D3CD0044 1A021168
	buffer_atomic_add_f32 v162, v8, s[32:35], 0 idxen offset:128// 000000005AE0: E1342080 8008A208
	v_mfma_f32_16x16x16_f16 v[68:71], a[106:107], a[10:11], v[68:71]// 000000005AE8: D3CD0044 1D12156A
	v_mfma_f32_16x16x16_f16 v[68:71], a[108:109], a[12:13], v[68:71]// 000000005AF0: D3CD0044 1D12196C
	ds_read_b128 v[132:135], v14 offset:15232                  // 000000005AF8: D9FE3B80 8400000E
	ds_write_b32 v13, v42 offset:2176                          // 000000005B00: D81A0880 00002A0D
	v_mfma_f32_16x16x16_f16 v[68:71], a[110:111], a[14:15], v[68:71]// 000000005B08: D3CD0044 1D121D6E
	v_mfma_f32_16x16x16_f16 v[72:75], a[104:105], a[16:17], 0  // 000000005B10: D3CD0048 1A022168
	buffer_atomic_add_f32 v163, v9, s[32:35], 0 idxen offset:128// 000000005B18: E1342080 8008A309
	v_mfma_f32_16x16x16_f16 v[72:75], a[106:107], a[18:19], v[72:75]// 000000005B20: D3CD0048 1D22256A
	ds_read_b128 v[136:139], v14 offset:15744                  // 000000005B28: D9FE3D80 8800000E
	ds_write_b32 v13, v43 offset:3232                          // 000000005B30: D81A0CA0 00002B0D
	v_mfma_f32_16x16x16_f16 v[72:75], a[108:109], a[20:21], v[72:75]// 000000005B38: D3CD0048 1D22296C
	v_mfma_f32_16x16x16_f16 v[72:75], a[110:111], a[22:23], v[72:75]// 000000005B40: D3CD0048 1D222D6E
	s_cmp_eq_i32 s80, 0                                        // 000000005B48: BF008050
	s_cbranch_scc1 label_07CD                                  // 000000005B4C: BF8500F0
	s_cmp_lt_i32 s74, 6                                        // 000000005B50: BF04864A
	s_cbranch_scc0 label_0754                                  // 000000005B54: BF84007E
	s_lshl_b32 s60, s74, 5                                     // 000000005B58: 8E3C854A
	s_lshl_b32 s61, 0, 4                                       // 000000005B5C: 8E3D8480
	s_add_i32 s60, s60, s61                                    // 000000005B60: 813C3D3C
	v_sub_i32 v32, v232, s60                                   // 000000005B64: D29D0020 000079E8
	s_mov_b32 s61, 0                                           // 000000005B6C: BEBD0080
	v_add_i32 v33, v32, s61                                    // 000000005B70: D29C0021 00007B20
	v_cmp_gt_i32_e64 s[70:71], v33, 0                          // 000000005B78: D0C40046 00010121
	v_cmp_gt_i32_e64 s[82:83], v33, 1                          // 000000005B80: D0C40052 00010321
	v_cndmask_b32_e64 v52, v52, v178, s[70:71]                 // 000000005B88: D1000034 011B6534
	v_cndmask_b32_e64 v53, v53, v178, s[82:83]                 // 000000005B90: D1000035 014B6535
	v_cmp_gt_i32_e64 s[70:71], v33, 2                          // 000000005B98: D0C40046 00010521
	v_cmp_gt_i32_e64 s[82:83], v33, 3                          // 000000005BA0: D0C40052 00010721
	v_cndmask_b32_e64 v54, v54, v178, s[70:71]                 // 000000005BA8: D1000036 011B6536
	v_cndmask_b32_e64 v55, v55, v178, s[82:83]                 // 000000005BB0: D1000037 014B6537
	s_mov_b32 s61, 64                                          // 000000005BB8: BEBD00C0
	v_add_i32 v33, v32, s61                                    // 000000005BBC: D29C0021 00007B20
	v_cmp_gt_i32_e64 s[70:71], v33, 0                          // 000000005BC4: D0C40046 00010121
	v_cmp_gt_i32_e64 s[82:83], v33, 1                          // 000000005BCC: D0C40052 00010321
	v_cndmask_b32_e64 v56, v56, v178, s[70:71]                 // 000000005BD4: D1000038 011B6538
	v_cndmask_b32_e64 v57, v57, v178, s[82:83]                 // 000000005BDC: D1000039 014B6539
	v_cmp_gt_i32_e64 s[70:71], v33, 2                          // 000000005BE4: D0C40046 00010521
	v_cmp_gt_i32_e64 s[82:83], v33, 3                          // 000000005BEC: D0C40052 00010721
	v_cndmask_b32_e64 v58, v58, v178, s[70:71]                 // 000000005BF4: D100003A 011B653A
	v_cndmask_b32_e64 v59, v59, v178, s[82:83]                 // 000000005BFC: D100003B 014B653B
	s_mov_b32 s61, 0x80                                        // 000000005C04: BEBD00FF 00000080
	v_add_i32 v33, v32, s61                                    // 000000005C0C: D29C0021 00007B20
	v_cmp_gt_i32_e64 s[70:71], v33, 0                          // 000000005C14: D0C40046 00010121
	v_cmp_gt_i32_e64 s[82:83], v33, 1                          // 000000005C1C: D0C40052 00010321
	v_cndmask_b32_e64 v60, v60, v178, s[70:71]                 // 000000005C24: D100003C 011B653C
	v_cndmask_b32_e64 v61, v61, v178, s[82:83]                 // 000000005C2C: D100003D 014B653D
	v_cmp_gt_i32_e64 s[70:71], v33, 2                          // 000000005C34: D0C40046 00010521
	v_cmp_gt_i32_e64 s[82:83], v33, 3                          // 000000005C3C: D0C40052 00010721
	v_cndmask_b32_e64 v62, v62, v178, s[70:71]                 // 000000005C44: D100003E 011B653E
	v_cndmask_b32_e64 v63, v63, v178, s[82:83]                 // 000000005C4C: D100003F 014B653F
	s_lshl_b32 s60, s74, 5                                     // 000000005C54: 8E3C854A
	s_lshl_b32 s61, 1, 4                                       // 000000005C58: 8E3D8481
	s_add_i32 s60, s60, s61                                    // 000000005C5C: 813C3D3C
	v_sub_i32 v32, v232, s60                                   // 000000005C60: D29D0020 000079E8
	s_mov_b32 s61, 0                                           // 000000005C68: BEBD0080
	v_add_i32 v33, v32, s61                                    // 000000005C6C: D29C0021 00007B20
	v_cmp_gt_i32_e64 s[70:71], v33, 0                          // 000000005C74: D0C40046 00010121
	v_cmp_gt_i32_e64 s[82:83], v33, 1                          // 000000005C7C: D0C40052 00010321
	v_cndmask_b32_e64 v64, v64, v178, s[70:71]                 // 000000005C84: D1000040 011B6540
	v_cndmask_b32_e64 v65, v65, v178, s[82:83]                 // 000000005C8C: D1000041 014B6541
	v_cmp_gt_i32_e64 s[70:71], v33, 2                          // 000000005C94: D0C40046 00010521
	v_cmp_gt_i32_e64 s[82:83], v33, 3                          // 000000005C9C: D0C40052 00010721
	v_cndmask_b32_e64 v66, v66, v178, s[70:71]                 // 000000005CA4: D1000042 011B6542
	v_cndmask_b32_e64 v67, v67, v178, s[82:83]                 // 000000005CAC: D1000043 014B6543
	s_mov_b32 s61, 64                                          // 000000005CB4: BEBD00C0
	v_add_i32 v33, v32, s61                                    // 000000005CB8: D29C0021 00007B20
	v_cmp_gt_i32_e64 s[70:71], v33, 0                          // 000000005CC0: D0C40046 00010121
	v_cmp_gt_i32_e64 s[82:83], v33, 1                          // 000000005CC8: D0C40052 00010321
	v_cndmask_b32_e64 v68, v68, v178, s[70:71]                 // 000000005CD0: D1000044 011B6544
	v_cndmask_b32_e64 v69, v69, v178, s[82:83]                 // 000000005CD8: D1000045 014B6545
	v_cmp_gt_i32_e64 s[70:71], v33, 2                          // 000000005CE0: D0C40046 00010521
	v_cmp_gt_i32_e64 s[82:83], v33, 3                          // 000000005CE8: D0C40052 00010721
	v_cndmask_b32_e64 v70, v70, v178, s[70:71]                 // 000000005CF0: D1000046 011B6546
	v_cndmask_b32_e64 v71, v71, v178, s[82:83]                 // 000000005CF8: D1000047 014B6547
	s_mov_b32 s61, 0x80                                        // 000000005D00: BEBD00FF 00000080
	v_add_i32 v33, v32, s61                                    // 000000005D08: D29C0021 00007B20
	v_cmp_gt_i32_e64 s[70:71], v33, 0                          // 000000005D10: D0C40046 00010121
	v_cmp_gt_i32_e64 s[82:83], v33, 1                          // 000000005D18: D0C40052 00010321
	v_cndmask_b32_e64 v72, v72, v178, s[70:71]                 // 000000005D20: D1000048 011B6548
	v_cndmask_b32_e64 v73, v73, v178, s[82:83]                 // 000000005D28: D1000049 014B6549
	v_cmp_gt_i32_e64 s[70:71], v33, 2                          // 000000005D30: D0C40046 00010521
	v_cmp_gt_i32_e64 s[82:83], v33, 3                          // 000000005D38: D0C40052 00010721
	v_cndmask_b32_e64 v74, v74, v178, s[70:71]                 // 000000005D40: D100004A 011B654A
	v_cndmask_b32_e64 v75, v75, v178, s[82:83]                 // 000000005D48: D100004B 014B654B

0000000000005d50 <label_0754>:
	s_cmp_lt_i32 s84, 0xc0                                     // 000000005D50: BF04FF54 000000C0
	s_cbranch_scc0 label_07CD                                  // 000000005D58: BF84006D
	s_cmp_le_i32 s84, 64                                       // 000000005D5C: BF05C054
	s_cbranch_scc1 label_0760                                  // 000000005D60: BF850007
	s_cmp_le_i32 s84, 0x80                                     // 000000005D64: BF05FF54 00000080
	s_cbranch_scc1 label_0784                                  // 000000005D6C: BF85001F
	s_cmp_lt_i32 s84, 0xc0                                     // 000000005D70: BF04FF54 000000C0
	s_cbranch_scc1 label_07A8                                  // 000000005D78: BF850040
	s_branch label_07CD                                        // 000000005D7C: BF820064

0000000000005d80 <label_0760>:
	s_mov_b32 s60, 0                                           // 000000005D80: BEBC0080
	v_and_b32_e32 v32, 15, v0                                  // 000000005D84: 2640008F
	v_add_u32_e64 v32, v32, s60                                // 000000005D88: D1340020 00007920
	v_mul_i32_i24_e64 v33, s46, 16                             // 000000005D90: D1060021 0001202E
	v_add_u32_e32 v32, v32, v33                                // 000000005D98: 68404320
	v_cmp_lt_u32_e64 s[60:61], v32, s84                        // 000000005D9C: D0C9003C 0000A920
	s_nop 1                                                    // 000000005DA4: BF800001
	v_cndmask_b32_e64 v52, v178, v52, s[60:61]                 // 000000005DA8: D1000034 00F269B2
	v_cndmask_b32_e64 v64, v178, v64, s[60:61]                 // 000000005DB0: D1000040 00F281B2
	v_cndmask_b32_e64 v53, v178, v53, s[60:61]                 // 000000005DB8: D1000035 00F26BB2
	v_cndmask_b32_e64 v65, v178, v65, s[60:61]                 // 000000005DC0: D1000041 00F283B2
	v_cndmask_b32_e64 v54, v178, v54, s[60:61]                 // 000000005DC8: D1000036 00F26DB2
	v_cndmask_b32_e64 v66, v178, v66, s[60:61]                 // 000000005DD0: D1000042 00F285B2
	v_cndmask_b32_e64 v55, v178, v55, s[60:61]                 // 000000005DD8: D1000037 00F26FB2
	v_cndmask_b32_e64 v67, v178, v67, s[60:61]                 // 000000005DE0: D1000043 00F287B2
	s_branch label_079F                                        // 000000005DE8: BF82001B

0000000000005dec <label_0784>:
	s_mov_b32 s60, 64                                          // 000000005DEC: BEBC00C0
	v_and_b32_e32 v32, 15, v0                                  // 000000005DF0: 2640008F
	v_add_u32_e64 v32, v32, s60                                // 000000005DF4: D1340020 00007920
	v_mul_i32_i24_e64 v33, s46, 16                             // 000000005DFC: D1060021 0001202E
	v_add_u32_e32 v32, v32, v33                                // 000000005E04: 68404320
	v_cmp_lt_u32_e64 s[60:61], v32, s84                        // 000000005E08: D0C9003C 0000A920
	s_nop 1                                                    // 000000005E10: BF800001
	v_cndmask_b32_e64 v56, v178, v56, s[60:61]                 // 000000005E14: D1000038 00F271B2
	v_cndmask_b32_e64 v68, v178, v68, s[60:61]                 // 000000005E1C: D1000044 00F289B2
	v_cndmask_b32_e64 v57, v178, v57, s[60:61]                 // 000000005E24: D1000039 00F273B2
	v_cndmask_b32_e64 v69, v178, v69, s[60:61]                 // 000000005E2C: D1000045 00F28BB2
	v_cndmask_b32_e64 v58, v178, v58, s[60:61]                 // 000000005E34: D100003A 00F275B2
	v_cndmask_b32_e64 v70, v178, v70, s[60:61]                 // 000000005E3C: D1000046 00F28DB2
	v_cndmask_b32_e64 v59, v178, v59, s[60:61]                 // 000000005E44: D100003B 00F277B2
	v_cndmask_b32_e64 v71, v178, v71, s[60:61]                 // 000000005E4C: D1000047 00F28FB2
	s_branch label_07C4                                        // 000000005E54: BF820025

0000000000005e58 <label_079F>:
	v_mov_b32_e32 v56, v178                                    // 000000005E58: 7E7003B2
	v_mov_b32_e32 v68, v178                                    // 000000005E5C: 7E8803B2
	v_mov_b32_e32 v57, v178                                    // 000000005E60: 7E7203B2
	v_mov_b32_e32 v69, v178                                    // 000000005E64: 7E8A03B2
	v_mov_b32_e32 v58, v178                                    // 000000005E68: 7E7403B2
	v_mov_b32_e32 v70, v178                                    // 000000005E6C: 7E8C03B2
	v_mov_b32_e32 v59, v178                                    // 000000005E70: 7E7603B2
	v_mov_b32_e32 v71, v178                                    // 000000005E74: 7E8E03B2
	s_branch label_07C4                                        // 000000005E78: BF82001C

0000000000005e7c <label_07A8>:
	s_mov_b32 s60, 0x80                                        // 000000005E7C: BEBC00FF 00000080
	v_and_b32_e32 v32, 15, v0                                  // 000000005E84: 2640008F
	v_add_u32_e64 v32, v32, s60                                // 000000005E88: D1340020 00007920
	v_mul_i32_i24_e64 v33, s46, 16                             // 000000005E90: D1060021 0001202E
	v_add_u32_e32 v32, v32, v33                                // 000000005E98: 68404320
	v_cmp_lt_u32_e64 s[60:61], v32, s84                        // 000000005E9C: D0C9003C 0000A920
	s_nop 1                                                    // 000000005EA4: BF800001
	v_cndmask_b32_e64 v60, v178, v60, s[60:61]                 // 000000005EA8: D100003C 00F279B2
	v_cndmask_b32_e64 v72, v178, v72, s[60:61]                 // 000000005EB0: D1000048 00F291B2
	v_cndmask_b32_e64 v61, v178, v61, s[60:61]                 // 000000005EB8: D100003D 00F27BB2
	v_cndmask_b32_e64 v73, v178, v73, s[60:61]                 // 000000005EC0: D1000049 00F293B2
	v_cndmask_b32_e64 v62, v178, v62, s[60:61]                 // 000000005EC8: D100003E 00F27DB2
	v_cndmask_b32_e64 v74, v178, v74, s[60:61]                 // 000000005ED0: D100004A 00F295B2
	v_cndmask_b32_e64 v63, v178, v63, s[60:61]                 // 000000005ED8: D100003F 00F27FB2
	v_cndmask_b32_e64 v75, v178, v75, s[60:61]                 // 000000005EE0: D100004B 00F297B2
	s_branch label_07CD                                        // 000000005EE8: BF820009

0000000000005eec <label_07C4>:
	v_mov_b32_e32 v60, v178                                    // 000000005EEC: 7E7803B2
	v_mov_b32_e32 v72, v178                                    // 000000005EF0: 7E9003B2
	v_mov_b32_e32 v61, v178                                    // 000000005EF4: 7E7A03B2
	v_mov_b32_e32 v73, v178                                    // 000000005EF8: 7E9203B2
	v_mov_b32_e32 v62, v178                                    // 000000005EFC: 7E7C03B2
	v_mov_b32_e32 v74, v178                                    // 000000005F00: 7E9403B2
	v_mov_b32_e32 v63, v178                                    // 000000005F04: 7E7E03B2
	v_mov_b32_e32 v75, v178                                    // 000000005F08: 7E9603B2
	s_branch label_07CD                                        // 000000005F0C: BF820000

0000000000005f10 <label_07CD>:
	s_addk_i32 s74, 0x1                                        // 000000005F10: B74A0001
	s_waitcnt lgkmcnt(8)                                       // 000000005F14: BF8CC87F
	s_barrier                                                  // 000000005F18: BF8A0000
	v_mfma_f32_16x16x16_f16 v[76:79], v[108:109], a[72:73], 0  // 000000005F1C: D3CD004C 1202916C
	ds_read_b128 a[96:99], v14 offset:4352                     // 000000005F24: DBFE1100 6000000E
	ds_read_b128 a[100:103], v14 offset:4864                   // 000000005F2C: DBFE1300 6400000E
	v_mfma_f32_16x16x16_f16 v[76:79], v[110:111], a[74:75], v[76:79]// 000000005F34: D3CD004C 1532956E
	v_fma_f32 v52, v52, s57, -v140                             // 000000005F3C: D1CB0034 86307334
	v_fma_f32 v53, v53, s57, -v141                             // 000000005F44: D1CB0035 86347335
	v_fma_f32 v54, v54, s57, -v142                             // 000000005F4C: D1CB0036 86387336
	v_fma_f32 v55, v55, s57, -v143                             // 000000005F54: D1CB0037 863C7337
	v_fma_f32 v56, v56, s57, -v140                             // 000000005F5C: D1CB0038 86307338
	v_fma_f32 v57, v57, s57, -v141                             // 000000005F64: D1CB0039 86347339
	v_mfma_f32_16x16x16_f16 v[76:79], v[112:113], a[76:77], v[76:79]// 000000005F6C: D3CD004C 15329970
	v_fma_f32 v58, v58, s57, -v142                             // 000000005F74: D1CB003A 8638733A
	v_fma_f32 v59, v59, s57, -v143                             // 000000005F7C: D1CB003B 863C733B
	v_fma_f32 v60, v60, s57, -v140                             // 000000005F84: D1CB003C 8630733C
	v_fma_f32 v61, v61, s57, -v141                             // 000000005F8C: D1CB003D 8634733D
	v_fma_f32 v62, v62, s57, -v142                             // 000000005F94: D1CB003E 8638733E
	v_fma_f32 v63, v63, s57, -v143                             // 000000005F9C: D1CB003F 863C733F
	v_mfma_f32_16x16x16_f16 v[76:79], v[114:115], a[78:79], v[76:79]// 000000005FA4: D3CD004C 15329D72
	v_fma_f32 v64, v64, s57, -v144                             // 000000005FAC: D1CB0040 86407340
	v_fma_f32 v65, v65, s57, -v145                             // 000000005FB4: D1CB0041 86447341
	v_fma_f32 v66, v66, s57, -v146                             // 000000005FBC: D1CB0042 86487342
	v_fma_f32 v67, v67, s57, -v147                             // 000000005FC4: D1CB0043 864C7343
	v_fma_f32 v68, v68, s57, -v144                             // 000000005FCC: D1CB0044 86407344
	v_fma_f32 v69, v69, s57, -v145                             // 000000005FD4: D1CB0045 86447345
	v_mfma_f32_16x16x16_f16 v[80:83], v[108:109], a[80:81], 0  // 000000005FDC: D3CD0050 1202A16C
	ds_read_b128 a[104:107], v14 offset:6528                   // 000000005FE4: DBFE1980 6800000E
	ds_read_b128 a[108:111], v14 offset:7040                   // 000000005FEC: DBFE1B80 6C00000E
	v_mfma_f32_16x16x16_f16 v[80:83], v[110:111], a[82:83], v[80:83]// 000000005FF4: D3CD0050 1542A56E
	v_fma_f32 v70, v70, s57, -v146                             // 000000005FFC: D1CB0046 86487346
	v_fma_f32 v71, v71, s57, -v147                             // 000000006004: D1CB0047 864C7347
	v_fma_f32 v72, v72, s57, -v144                             // 00000000600C: D1CB0048 86407348
	v_fma_f32 v73, v73, s57, -v145                             // 000000006014: D1CB0049 86447349
	v_fma_f32 v74, v74, s57, -v146                             // 00000000601C: D1CB004A 8648734A
	v_fma_f32 v75, v75, s57, -v147                             // 000000006024: D1CB004B 864C734B
	v_mfma_f32_16x16x16_f16 v[80:83], v[112:113], a[84:85], v[80:83]// 00000000602C: D3CD0050 1542A970
	v_exp_f32_e32 v52, v52                                     // 000000006034: 7E684134
	v_exp_f32_e32 v53, v53                                     // 000000006038: 7E6A4135
	v_mfma_f32_16x16x16_f16 v[80:83], v[114:115], a[86:87], v[80:83]// 00000000603C: D3CD0050 1542AD72
	v_exp_f32_e32 v54, v54                                     // 000000006044: 7E6C4136
	v_exp_f32_e32 v55, v55                                     // 000000006048: 7E6E4137
	v_mfma_f32_16x16x16_f16 v[84:87], v[108:109], a[88:89], 0  // 00000000604C: D3CD0054 1202B16C
	ds_read_b64 v[156:157], v21 offset:31232                   // 000000006054: D8EC7A00 9C000015
	ds_read_b64 v[158:159], v21 offset:33280                   // 00000000605C: D8EC8200 9E000015
	v_mfma_f32_16x16x16_f16 v[84:87], v[110:111], a[90:91], v[84:87]// 000000006064: D3CD0054 1552B56E
	v_exp_f32_e32 v56, v56                                     // 00000000606C: 7E704138
	v_exp_f32_e32 v57, v57                                     // 000000006070: 7E724139
	v_mfma_f32_16x16x16_f16 v[84:87], v[112:113], a[92:93], v[84:87]// 000000006074: D3CD0054 1552B970
	ds_read_b64 v[160:161], v21 offset:35328                   // 00000000607C: D8EC8A00 A0000015
	ds_read_b64 v[162:163], v21 offset:37376                   // 000000006084: D8EC9200 A2000015
	v_mfma_f32_16x16x16_f16 v[84:87], v[114:115], a[94:95], v[84:87]// 00000000608C: D3CD0054 1552BD72
	v_exp_f32_e32 v58, v58                                     // 000000006094: 7E74413A
	v_exp_f32_e32 v59, v59                                     // 000000006098: 7E76413B
	v_mfma_f32_16x16x16_f16 v[88:91], v[116:117], a[72:73], 0  // 00000000609C: D3CD0058 12029174
	v_exp_f32_e32 v60, v60                                     // 0000000060A4: 7E78413C
	v_exp_f32_e32 v61, v61                                     // 0000000060A8: 7E7A413D
	v_mfma_f32_16x16x16_f16 v[88:91], v[118:119], a[74:75], v[88:91]// 0000000060AC: D3CD0058 15629576
	v_exp_f32_e32 v62, v62                                     // 0000000060B4: 7E7C413E
	v_exp_f32_e32 v63, v63                                     // 0000000060B8: 7E7E413F
	v_mfma_f32_16x16x16_f16 v[88:91], v[120:121], a[76:77], v[88:91]// 0000000060BC: D3CD0058 15629978
	v_exp_f32_e32 v64, v64                                     // 0000000060C4: 7E804140
	v_exp_f32_e32 v65, v65                                     // 0000000060C8: 7E824141
	v_mfma_f32_16x16x16_f16 v[88:91], v[122:123], a[78:79], v[88:91]// 0000000060CC: D3CD0058 15629D7A
	v_exp_f32_e32 v66, v66                                     // 0000000060D4: 7E844142
	v_exp_f32_e32 v67, v67                                     // 0000000060D8: 7E864143
	v_mfma_f32_16x16x16_f16 v[92:95], v[116:117], a[80:81], 0  // 0000000060DC: D3CD005C 1202A174
	v_exp_f32_e32 v68, v68                                     // 0000000060E4: 7E884144
	v_exp_f32_e32 v69, v69                                     // 0000000060E8: 7E8A4145
	v_mfma_f32_16x16x16_f16 v[92:95], v[118:119], a[82:83], v[92:95]// 0000000060EC: D3CD005C 1572A576
	v_exp_f32_e32 v70, v70                                     // 0000000060F4: 7E8C4146
	v_exp_f32_e32 v71, v71                                     // 0000000060F8: 7E8E4147
	v_mfma_f32_16x16x16_f16 v[92:95], v[120:121], a[84:85], v[92:95]// 0000000060FC: D3CD005C 1572A978
	v_exp_f32_e32 v72, v72                                     // 000000006104: 7E904148
	v_exp_f32_e32 v73, v73                                     // 000000006108: 7E924149
	v_mfma_f32_16x16x16_f16 v[92:95], v[122:123], a[86:87], v[92:95]// 00000000610C: D3CD005C 1572AD7A
	v_exp_f32_e32 v74, v74                                     // 000000006114: 7E94414A
	v_exp_f32_e32 v75, v75                                     // 000000006118: 7E96414B
	v_mfma_f32_16x16x16_f16 v[96:99], v[116:117], a[88:89], 0  // 00000000611C: D3CD0060 1202B174
	v_cvt_pkrtz_f16_f32 v164, v52, v53                         // 000000006124: D29600A4 00026B34
	v_cvt_pkrtz_f16_f32 v165, v54, v55                         // 00000000612C: D29600A5 00026F36
	v_cvt_pkrtz_f16_f32 v166, v56, v57                         // 000000006134: D29600A6 00027338
	v_cvt_pkrtz_f16_f32 v167, v58, v59                         // 00000000613C: D29600A7 0002773A
	v_cvt_pkrtz_f16_f32 v168, v60, v61                         // 000000006144: D29600A8 00027B3C
	v_cvt_pkrtz_f16_f32 v169, v62, v63                         // 00000000614C: D29600A9 00027F3E
	v_mfma_f32_16x16x16_f16 v[96:99], v[118:119], a[90:91], v[96:99]// 000000006154: D3CD0060 1582B576
	v_cvt_pkrtz_f16_f32 v170, v64, v65                         // 00000000615C: D29600AA 00028340
	v_cvt_pkrtz_f16_f32 v171, v66, v67                         // 000000006164: D29600AB 00028742
	v_cvt_pkrtz_f16_f32 v172, v68, v69                         // 00000000616C: D29600AC 00028B44
	v_cvt_pkrtz_f16_f32 v173, v70, v71                         // 000000006174: D29600AD 00028F46
	v_cvt_pkrtz_f16_f32 v174, v72, v73                         // 00000000617C: D29600AE 00029348
	v_cvt_pkrtz_f16_f32 v175, v74, v75                         // 000000006184: D29600AF 0002974A
	v_mfma_f32_16x16x16_f16 v[96:99], v[120:121], a[92:93], v[96:99]// 00000000618C: D3CD0060 1582B978
	v_add_u32_e32 v6, s66, v6                                  // 000000006194: 680C0C42
	v_add_u32_e32 v7, s66, v7                                  // 000000006198: 680E0E42
	v_add_u32_e32 v8, s66, v8                                  // 00000000619C: 68101042
	v_add_u32_e32 v9, s66, v9                                  // 0000000061A0: 68121242
	v_mfma_f32_16x16x16_f16 v[96:99], v[122:123], a[94:95], v[96:99]// 0000000061A4: D3CD0060 1582BD7A
	s_waitcnt lgkmcnt(0)                                       // 0000000061AC: BF8CC07F
	s_barrier                                                  // 0000000061B0: BF8A0000
	v_mfma_f32_16x16x16_f16 v[180:183], v[124:125], v[164:165], v[180:183]// 0000000061B4: D3CD00B4 06D3497C
	v_subrev_f32_dpp v76, v176, v76 quad_perm:[0,0,0,0] row_mask:0xf bank_mask:0xf// 0000000061BC: 069898FA FF0000B0
	v_subrev_f32_dpp v77, v176, v77 quad_perm:[1,1,1,1] row_mask:0xf bank_mask:0xf// 0000000061C4: 069A9AFA FF0055B0
	v_subrev_f32_dpp v78, v176, v78 quad_perm:[2,2,2,2] row_mask:0xf bank_mask:0xf// 0000000061CC: 069C9CFA FF00AAB0
	v_subrev_f32_dpp v79, v176, v79 quad_perm:[3,3,3,3] row_mask:0xf bank_mask:0xf// 0000000061D4: 069E9EFA FF00FFB0
	v_subrev_f32_dpp v80, v176, v80 quad_perm:[0,0,0,0] row_mask:0xf bank_mask:0xf// 0000000061DC: 06A0A0FA FF0000B0
	v_subrev_f32_dpp v81, v176, v81 quad_perm:[1,1,1,1] row_mask:0xf bank_mask:0xf// 0000000061E4: 06A2A2FA FF0055B0
	v_mfma_f32_16x16x16_f16 v[184:187], v[126:127], v[164:165], v[184:187]// 0000000061EC: D3CD00B8 06E3497E
	v_subrev_f32_dpp v82, v176, v82 quad_perm:[2,2,2,2] row_mask:0xf bank_mask:0xf// 0000000061F4: 06A4A4FA FF00AAB0
	v_subrev_f32_dpp v83, v176, v83 quad_perm:[3,3,3,3] row_mask:0xf bank_mask:0xf// 0000000061FC: 06A6A6FA FF00FFB0
	v_subrev_f32_dpp v84, v176, v84 quad_perm:[0,0,0,0] row_mask:0xf bank_mask:0xf// 000000006204: 06A8A8FA FF0000B0
	v_subrev_f32_dpp v85, v176, v85 quad_perm:[1,1,1,1] row_mask:0xf bank_mask:0xf// 00000000620C: 06AAAAFA FF0055B0
	v_subrev_f32_dpp v86, v176, v86 quad_perm:[2,2,2,2] row_mask:0xf bank_mask:0xf// 000000006214: 06ACACFA FF00AAB0
	v_subrev_f32_dpp v87, v176, v87 quad_perm:[3,3,3,3] row_mask:0xf bank_mask:0xf// 00000000621C: 06AEAEFA FF00FFB0
	v_mfma_f32_16x16x16_f16 v[188:191], v[128:129], v[164:165], v[188:191]// 000000006224: D3CD00BC 06F34980
	v_mul_f32_e32 v76, v52, v76                                // 00000000622C: 0A989934
	v_mul_f32_e32 v77, v53, v77                                // 000000006230: 0A9A9B35
	v_mul_f32_e32 v78, v54, v78                                // 000000006234: 0A9C9D36
	v_mul_f32_e32 v79, v55, v79                                // 000000006238: 0A9E9F37
	v_mul_f32_e32 v80, v56, v80                                // 00000000623C: 0AA0A138
	v_mul_f32_e32 v81, v57, v81                                // 000000006240: 0AA2A339
	v_mfma_f32_16x16x16_f16 v[192:195], v[130:131], v[164:165], v[192:195]// 000000006244: D3CD00C0 07034982
	v_mul_f32_e32 v82, v58, v82                                // 00000000624C: 0AA4A53A
	v_mul_f32_e32 v83, v59, v83                                // 000000006250: 0AA6A73B
	v_mul_f32_e32 v84, v60, v84                                // 000000006254: 0AA8A93C
	v_mul_f32_e32 v85, v61, v85                                // 000000006258: 0AAAAB3D
	v_mul_f32_e32 v86, v62, v86                                // 00000000625C: 0AACAD3E
	v_mul_f32_e32 v87, v63, v87                                // 000000006260: 0AAEAF3F
	v_mfma_f32_16x16x16_f16 v[196:199], v[124:125], v[166:167], v[196:199]// 000000006264: D3CD00C4 07134D7C
	v_cvt_pkrtz_f16_f32 v76, v76, v77                          // 00000000626C: D296004C 00029B4C
	v_cvt_pkrtz_f16_f32 v77, v78, v79                          // 000000006274: D296004D 00029F4E
	v_cvt_pkrtz_f16_f32 v78, v80, v81                          // 00000000627C: D296004E 0002A350
	v_cvt_pkrtz_f16_f32 v79, v82, v83                          // 000000006284: D296004F 0002A752
	v_cvt_pkrtz_f16_f32 v80, v84, v85                          // 00000000628C: D2960050 0002AB54
	v_cvt_pkrtz_f16_f32 v81, v86, v87                          // 000000006294: D2960051 0002AF56
	v_mfma_f32_16x16x16_f16 v[200:203], v[126:127], v[166:167], v[200:203]// 00000000629C: D3CD00C8 07234D7E
	v_mov_b32_dpp v18, v76 quad_perm:[1,0,3,2] row_mask:0xf bank_mask:0xf// 0000000062A4: 7E2402FA FF00B14C
	v_perm_b32 v52, v18, v76, v17                              // 0000000062AC: D1ED0034 04469912
	v_mov_b32_dpp v18, v77 quad_perm:[1,0,3,2] row_mask:0xf bank_mask:0xf// 0000000062B4: 7E2402FA FF00B14D
	v_perm_b32 v53, v18, v77, v17                              // 0000000062BC: D1ED0035 04469B12
	v_mov_b32_dpp v18, v78 quad_perm:[1,0,3,2] row_mask:0xf bank_mask:0xf// 0000000062C4: 7E2402FA FF00B14E
	v_perm_b32 v54, v18, v78, v17                              // 0000000062CC: D1ED0036 04469D12
	v_mfma_f32_16x16x16_f16 v[204:207], v[128:129], v[166:167], v[204:207]// 0000000062D4: D3CD00CC 07334D80
	v_mov_b32_dpp v18, v79 quad_perm:[1,0,3,2] row_mask:0xf bank_mask:0xf// 0000000062DC: 7E2402FA FF00B14F
	v_perm_b32 v55, v18, v79, v17                              // 0000000062E4: D1ED0037 04469F12
	v_mov_b32_dpp v18, v80 quad_perm:[1,0,3,2] row_mask:0xf bank_mask:0xf// 0000000062EC: 7E2402FA FF00B150
	v_perm_b32 v56, v18, v80, v17                              // 0000000062F4: D1ED0038 0446A112
	v_mov_b32_dpp v18, v81 quad_perm:[1,0,3,2] row_mask:0xf bank_mask:0xf// 0000000062FC: 7E2402FA FF00B151
	v_perm_b32 v57, v18, v81, v17                              // 000000006304: D1ED0039 0446A312
	v_mfma_f32_16x16x16_f16 v[208:211], v[130:131], v[166:167], v[208:211]// 00000000630C: D3CD00D0 07434D82
	ds_write_b32 v20, v52 offset:17408                         // 000000006314: D81A4400 00003414
	ds_write_b32 v20, v53 offset:17952                         // 00000000631C: D81A4620 00003514
	v_mfma_f32_16x16x16_f16 v[212:215], v[124:125], v[168:169], v[212:215]// 000000006324: D3CD00D4 0753517C
	v_subrev_f32_dpp v88, v177, v88 quad_perm:[0,0,0,0] row_mask:0xf bank_mask:0xf// 00000000632C: 06B0B0FA FF0000B1
	v_subrev_f32_dpp v89, v177, v89 quad_perm:[1,1,1,1] row_mask:0xf bank_mask:0xf// 000000006334: 06B2B2FA FF0055B1
	v_subrev_f32_dpp v90, v177, v90 quad_perm:[2,2,2,2] row_mask:0xf bank_mask:0xf// 00000000633C: 06B4B4FA FF00AAB1
	v_subrev_f32_dpp v91, v177, v91 quad_perm:[3,3,3,3] row_mask:0xf bank_mask:0xf// 000000006344: 06B6B6FA FF00FFB1
	v_subrev_f32_dpp v92, v177, v92 quad_perm:[0,0,0,0] row_mask:0xf bank_mask:0xf// 00000000634C: 06B8B8FA FF0000B1
	v_subrev_f32_dpp v93, v177, v93 quad_perm:[1,1,1,1] row_mask:0xf bank_mask:0xf// 000000006354: 06BABAFA FF0055B1
	v_mfma_f32_16x16x16_f16 v[216:219], v[126:127], v[168:169], v[216:219]// 00000000635C: D3CD00D8 0763517E
	ds_write_b32 v20, v54 offset:19712                         // 000000006364: D81A4D00 00003614
	ds_write_b32 v20, v55 offset:20256                         // 00000000636C: D81A4F20 00003714
	v_mfma_f32_16x16x16_f16 v[220:223], v[128:129], v[168:169], v[220:223]// 000000006374: D3CD00DC 07735180
	v_subrev_f32_dpp v94, v177, v94 quad_perm:[2,2,2,2] row_mask:0xf bank_mask:0xf// 00000000637C: 06BCBCFA FF00AAB1
	v_subrev_f32_dpp v95, v177, v95 quad_perm:[3,3,3,3] row_mask:0xf bank_mask:0xf// 000000006384: 06BEBEFA FF00FFB1
	v_subrev_f32_dpp v96, v177, v96 quad_perm:[0,0,0,0] row_mask:0xf bank_mask:0xf// 00000000638C: 06C0C0FA FF0000B1
	v_subrev_f32_dpp v97, v177, v97 quad_perm:[1,1,1,1] row_mask:0xf bank_mask:0xf// 000000006394: 06C2C2FA FF0055B1
	v_subrev_f32_dpp v98, v177, v98 quad_perm:[2,2,2,2] row_mask:0xf bank_mask:0xf// 00000000639C: 06C4C4FA FF00AAB1
	v_subrev_f32_dpp v99, v177, v99 quad_perm:[3,3,3,3] row_mask:0xf bank_mask:0xf// 0000000063A4: 06C6C6FA FF00FFB1
	v_mfma_f32_16x16x16_f16 v[224:227], v[130:131], v[168:169], v[224:227]// 0000000063AC: D3CD00E0 07835182
	ds_write_b32 v20, v56 offset:22016                         // 0000000063B4: D81A5600 00003814
	ds_write_b32 v20, v57 offset:22560                         // 0000000063BC: D81A5820 00003914
	v_mfma_f32_16x16x16_f16 v[180:183], v[132:133], v[170:171], v[180:183]// 0000000063C4: D3CD00B4 06D35584
	v_mul_f32_e32 v88, v64, v88                                // 0000000063CC: 0AB0B140
	v_mul_f32_e32 v89, v65, v89                                // 0000000063D0: 0AB2B341
	v_mul_f32_e32 v90, v66, v90                                // 0000000063D4: 0AB4B542
	v_mul_f32_e32 v91, v67, v91                                // 0000000063D8: 0AB6B743
	v_mul_f32_e32 v92, v68, v92                                // 0000000063DC: 0AB8B944
	v_mul_f32_e32 v93, v69, v93                                // 0000000063E0: 0ABABB45
	v_mfma_f32_16x16x16_f16 v[184:187], v[134:135], v[170:171], v[184:187]// 0000000063E4: D3CD00B8 06E35586
	v_mul_f32_e32 v94, v70, v94                                // 0000000063EC: 0ABCBD46
	v_mul_f32_e32 v95, v71, v95                                // 0000000063F0: 0ABEBF47
	v_mul_f32_e32 v96, v72, v96                                // 0000000063F4: 0AC0C148
	v_mul_f32_e32 v97, v73, v97                                // 0000000063F8: 0AC2C349
	v_mul_f32_e32 v98, v74, v98                                // 0000000063FC: 0AC4C54A
	v_mul_f32_e32 v99, v75, v99                                // 000000006400: 0AC6C74B
	v_mfma_f32_16x16x16_f16 v[188:191], v[136:137], v[170:171], v[188:191]// 000000006404: D3CD00BC 06F35588
	v_cvt_pkrtz_f16_f32 v82, v88, v89                          // 00000000640C: D2960052 0002B358
	v_cvt_pkrtz_f16_f32 v83, v90, v91                          // 000000006414: D2960053 0002B75A
	v_cvt_pkrtz_f16_f32 v84, v92, v93                          // 00000000641C: D2960054 0002BB5C
	v_cvt_pkrtz_f16_f32 v85, v94, v95                          // 000000006424: D2960055 0002BF5E
	v_cvt_pkrtz_f16_f32 v86, v96, v97                          // 00000000642C: D2960056 0002C360
	v_cvt_pkrtz_f16_f32 v87, v98, v99                          // 000000006434: D2960057 0002C762
	v_mfma_f32_16x16x16_f16 v[192:195], v[138:139], v[170:171], v[192:195]// 00000000643C: D3CD00C0 0703558A
	v_mov_b32_dpp v18, v82 quad_perm:[1,0,3,2] row_mask:0xf bank_mask:0xf// 000000006444: 7E2402FA FF00B152
	v_perm_b32 v58, v18, v82, v17                              // 00000000644C: D1ED003A 0446A512
	v_mov_b32_dpp v18, v83 quad_perm:[1,0,3,2] row_mask:0xf bank_mask:0xf// 000000006454: 7E2402FA FF00B153
	v_perm_b32 v59, v18, v83, v17                              // 00000000645C: D1ED003B 0446A712
	v_mov_b32_dpp v18, v84 quad_perm:[1,0,3,2] row_mask:0xf bank_mask:0xf// 000000006464: 7E2402FA FF00B154
	v_perm_b32 v60, v18, v84, v17                              // 00000000646C: D1ED003C 0446A912
	v_mfma_f32_16x16x16_f16 v[196:199], v[132:133], v[172:173], v[196:199]// 000000006474: D3CD00C4 07135984
	v_mov_b32_dpp v18, v85 quad_perm:[1,0,3,2] row_mask:0xf bank_mask:0xf// 00000000647C: 7E2402FA FF00B155
	v_perm_b32 v61, v18, v85, v17                              // 000000006484: D1ED003D 0446AB12
	v_mov_b32_dpp v18, v86 quad_perm:[1,0,3,2] row_mask:0xf bank_mask:0xf// 00000000648C: 7E2402FA FF00B156
	v_perm_b32 v62, v18, v86, v17                              // 000000006494: D1ED003E 0446AD12
	v_mov_b32_dpp v18, v87 quad_perm:[1,0,3,2] row_mask:0xf bank_mask:0xf// 00000000649C: 7E2402FA FF00B157
	v_perm_b32 v63, v18, v87, v17                              // 0000000064A4: D1ED003F 0446AF12
	v_mfma_f32_16x16x16_f16 v[200:203], v[134:135], v[172:173], v[200:203]// 0000000064AC: D3CD00C8 07235986
	ds_write_b32 v20, v58 offset:24320                         // 0000000064B4: D81A5F00 00003A14
	ds_write_b32 v20, v59 offset:24864                         // 0000000064BC: D81A6120 00003B14
	v_mfma_f32_16x16x16_f16 v[204:207], v[136:137], v[172:173], v[204:207]// 0000000064C4: D3CD00CC 07335988
	v_mfma_f32_16x16x16_f16 v[208:211], v[138:139], v[172:173], v[208:211]// 0000000064CC: D3CD00D0 0743598A
	ds_write_b32 v20, v60 offset:26624                         // 0000000064D4: D81A6800 00003C14
	ds_write_b32 v20, v61 offset:27168                         // 0000000064DC: D81A6A20 00003D14
	ds_write_b32 v20, v62 offset:28928                         // 0000000064E4: D81A7100 00003E14
	ds_write_b32 v20, v63 offset:29472                         // 0000000064EC: D81A7320 00003F14
	v_mfma_f32_16x16x16_f16 v[212:215], v[132:133], v[174:175], v[212:215]// 0000000064F4: D3CD00D4 07535D84
	v_mfma_f32_16x16x16_f16 v[216:219], v[134:135], v[174:175], v[216:219]// 0000000064FC: D3CD00D8 07635D86
	ds_write_b32 v15, v100 offset:4352                         // 000000006504: D81A1100 0000640F
	ds_write_b32 v15, v101 offset:5408                         // 00000000650C: D81A1520 0000650F
	v_mfma_f32_16x16x16_f16 v[220:223], v[136:137], v[174:175], v[220:223]// 000000006514: D3CD00DC 07735D88
	s_nop 0                                                    // 00000000651C: BF800000
	s_nop 0                                                    // 000000006520: BF800000
	s_nop 0                                                    // 000000006524: BF800000
	v_mfma_f32_16x16x16_f16 v[224:227], v[138:139], v[174:175], v[224:227]// 000000006528: D3CD00E0 07835D8A
	ds_write_b32 v15, v102 offset:6528                         // 000000006530: D81A1980 0000660F
	ds_write_b32 v15, v103 offset:7584                         // 000000006538: D81A1DA0 0000670F
	s_barrier                                                  // 000000006540: BF8A0000
	v_mfma_f32_16x16x16_f16 a[112:115], a[96:97], v[76:77], a[112:115]// 000000006544: D3CD8070 0DC29960
	buffer_atomic_add_f32 v156, v6, s[32:35], 0 idxen          // 00000000654C: E1342000 80089C06
	v_mfma_f32_16x16x16_f16 a[116:119], a[98:99], v[76:77], a[116:119]// 000000006554: D3CD8074 0DD29962
	ds_read_b32 v140, v23 offset:39936                         // 00000000655C: D86C9C00 8C000017
	ds_read_b32 v144, v23 offset:40000                         // 000000006564: D86C9C40 90000017
	ds_read_b32 v176, v23 offset:40192                         // 00000000656C: D86C9D00 B0000017
	ds_read_b32 v177, v23 offset:40256                         // 000000006574: D86C9D40 B1000017
	v_mfma_f32_16x16x16_f16 a[120:123], a[100:101], v[76:77], a[120:123]// 00000000657C: D3CD8078 0DE29964
	s_waitcnt lgkmcnt(8)                                       // 000000006584: BF8CC87F
	s_barrier                                                  // 000000006588: BF8A0000
	v_mfma_f32_16x16x16_f16 a[124:127], a[102:103], v[76:77], a[124:127]// 00000000658C: D3CD807C 0DF29966
	ds_read_b128 v[52:55], v19 offset:17408                    // 000000006594: D9FE4400 34000013
	v_mfma_f32_16x16x16_f16 a[128:131], a[96:97], v[78:79], a[128:131]// 00000000659C: D3CD8080 0E029D60
	v_mfma_f32_16x16x16_f16 a[132:135], a[98:99], v[78:79], a[132:135]// 0000000065A4: D3CD8084 0E129D62
	ds_read_b128 v[56:59], v19 offset:18560                    // 0000000065AC: D9FE4880 38000013
	v_mfma_f32_16x16x16_f16 a[136:139], a[100:101], v[78:79], a[136:139]// 0000000065B4: D3CD8088 0E229D64
	buffer_atomic_add_f32 v157, v7, s[32:35], 0 idxen          // 0000000065BC: E1342000 80089D07
	v_mfma_f32_16x16x16_f16 a[140:143], a[102:103], v[78:79], a[140:143]// 0000000065C4: D3CD808C 0E329D66
	ds_read_b128 v[60:63], v19 offset:19712                    // 0000000065CC: D9FE4D00 3C000013
	v_mfma_f32_16x16x16_f16 a[144:147], a[96:97], v[80:81], a[144:147]// 0000000065D4: D3CD8090 0E42A160
	v_mfma_f32_16x16x16_f16 a[148:151], a[98:99], v[80:81], a[148:151]// 0000000065DC: D3CD8094 0E52A162
	ds_read_b128 v[64:67], v19 offset:20864                    // 0000000065E4: D9FE5180 40000013
	v_mfma_f32_16x16x16_f16 a[152:155], a[100:101], v[80:81], a[152:155]// 0000000065EC: D3CD8098 0E62A164
	v_mfma_f32_16x16x16_f16 a[156:159], a[102:103], v[80:81], a[156:159]// 0000000065F4: D3CD809C 0E72A166
	ds_read_b128 v[68:71], v19 offset:22016                    // 0000000065FC: D9FE5600 44000013
	v_mfma_f32_16x16x16_f16 a[112:115], a[104:105], v[82:83], a[112:115]// 000000006604: D3CD8070 0DC2A568
	buffer_atomic_add_f32 v158, v6, s[32:35], 0 idxen offset:128// 00000000660C: E1342080 80089E06
	v_mfma_f32_16x16x16_f16 a[116:119], a[106:107], v[82:83], a[116:119]// 000000006614: D3CD8074 0DD2A56A
	ds_read_b128 v[72:75], v19 offset:23168                    // 00000000661C: D9FE5A80 48000013
	v_mfma_f32_16x16x16_f16 a[120:123], a[108:109], v[82:83], a[120:123]// 000000006624: D3CD8078 0DE2A56C
	v_mfma_f32_16x16x16_f16 a[124:127], a[110:111], v[82:83], a[124:127]// 00000000662C: D3CD807C 0DF2A56E
	ds_write_b32 v15, v104 offset:13056                        // 000000006634: D81A3300 0000680F
	v_mfma_f32_16x16x16_f16 a[128:131], a[104:105], v[84:85], a[128:131]// 00000000663C: D3CD8080 0E02A968
	v_mfma_f32_16x16x16_f16 a[132:135], a[106:107], v[84:85], a[132:135]// 000000006644: D3CD8084 0E12A96A
	ds_write_b32 v15, v105 offset:14112                        // 00000000664C: D81A3720 0000690F
	v_mfma_f32_16x16x16_f16 a[136:139], a[108:109], v[84:85], a[136:139]// 000000006654: D3CD8088 0E22A96C
	buffer_atomic_add_f32 v159, v7, s[32:35], 0 idxen offset:128// 00000000665C: E1342080 80089F07
	v_mfma_f32_16x16x16_f16 a[140:143], a[110:111], v[84:85], a[140:143]// 000000006664: D3CD808C 0E32A96E
	ds_write_b32 v15, v106 offset:15232                        // 00000000666C: D81A3B80 00006A0F
	v_mfma_f32_16x16x16_f16 a[144:147], a[104:105], v[86:87], a[144:147]// 000000006674: D3CD8090 0E42AD68
	v_mfma_f32_16x16x16_f16 a[148:151], a[106:107], v[86:87], a[148:151]// 00000000667C: D3CD8094 0E52AD6A
	ds_write_b32 v15, v107 offset:16288                        // 000000006684: D81A3FA0 00006B0F
	v_mfma_f32_16x16x16_f16 a[152:155], a[108:109], v[86:87], a[152:155]// 00000000668C: D3CD8098 0E62AD6C
	v_mfma_f32_16x16x16_f16 a[156:159], a[110:111], v[86:87], a[156:159]// 000000006694: D3CD809C 0E72AD6E
	s_waitcnt vmcnt(8) lgkmcnt(4)                              // 00000000669C: BF8C0478
	s_barrier                                                  // 0000000066A0: BF8A0000
	v_mfma_f32_16x16x16_f16 v[148:151], v[52:53], a[24:25], 0  // 0000000066A4: D3CD0094 12023134
	v_mul_f32_e32 v140, s48, v140                              // 0000000066AC: 0B191830
	v_mul_f32_e32 v144, s48, v144                              // 0000000066B0: 0B212030
	s_nop 0                                                    // 0000000066B4: BF800000
	v_mfma_f32_16x16x16_f16 v[148:151], v[54:55], a[28:29], v[148:151]// 0000000066B8: D3CD0094 16523936
	ds_read_b128 a[96:99], v12                                 // 0000000066C0: DBFE0000 6000000C
	buffer_load_dword v40, v1, s[8:11], 0 idxen                // 0000000066C8: E0502000 80022801
	v_mfma_f32_16x16x16_f16 v[148:151], v[56:57], a[32:33], v[148:151]// 0000000066D0: D3CD0094 16524138
	v_mfma_f32_16x16x16_f16 v[148:151], v[58:59], a[36:37], v[148:151]// 0000000066D8: D3CD0094 1652493A
	ds_read_b128 a[100:103], v12 offset:512                    // 0000000066E0: DBFE0200 6400000C
	buffer_load_dword v41, v2, s[8:11], 0 idxen                // 0000000066E8: E0502000 80022902
	v_mfma_f32_16x16x16_f16 v[148:151], v[60:61], a[40:41], v[148:151]// 0000000066F0: D3CD0094 1652513C
	v_perm_b32 v100, v37, v36, s63                             // 0000000066F8: D1ED0064 00FE4925
	v_perm_b32 v101, v37, v36, s64                             // 000000006700: D1ED0065 01024925
	v_mfma_f32_16x16x16_f16 v[148:151], v[62:63], a[44:45], v[148:151]// 000000006708: D3CD0094 1652593E
	ds_read_b128 a[104:107], v12 offset:2176                   // 000000006710: DBFE0880 6800000C
	buffer_load_dword v42, v3, s[8:11], 0 idxen                // 000000006718: E0502000 80022A03
	v_mfma_f32_16x16x16_f16 v[148:151], v[64:65], a[48:49], v[148:151]// 000000006720: D3CD0094 16526140
	v_perm_b32 v102, v39, v38, s63                             // 000000006728: D1ED0066 00FE4D27
	v_perm_b32 v103, v39, v38, s64                             // 000000006730: D1ED0067 01024D27
	v_mfma_f32_16x16x16_f16 v[148:151], v[66:67], a[52:53], v[148:151]// 000000006738: D3CD0094 16526942
	ds_read_b128 a[108:111], v12 offset:2688                   // 000000006740: DBFE0A80 6C00000C
	buffer_load_dword v43, v4, s[8:11], 0 idxen                // 000000006748: E0502000 80022B04
	v_mfma_f32_16x16x16_f16 v[148:151], v[68:69], a[56:57], v[148:151]// 000000006750: D3CD0094 16527144
	v_perm_b32 v104, v45, v44, s63                             // 000000006758: D1ED0068 00FE592D
	v_perm_b32 v105, v45, v44, s64                             // 000000006760: D1ED0069 0102592D
	v_mfma_f32_16x16x16_f16 v[148:151], v[70:71], a[60:61], v[148:151]// 000000006768: D3CD0094 16527946
	ds_read_b128 v[108:111], v12 offset:8704                   // 000000006770: D9FE2200 6C00000C
	buffer_load_dword v48, v228, s[20:23], 0 idxen             // 000000006778: E0502000 800530E4
	v_mfma_f32_16x16x16_f16 v[148:151], v[72:73], a[64:65], v[148:151]// 000000006780: D3CD0094 16528148
	v_perm_b32 v106, v47, v46, s63                             // 000000006788: D1ED006A 00FE5D2F
	v_perm_b32 v107, v47, v46, s64                             // 000000006790: D1ED006B 01025D2F
	v_mfma_f32_16x16x16_f16 v[148:151], v[74:75], a[68:69], v[148:151]// 000000006798: D3CD0094 1652894A
	ds_read_b128 v[112:115], v12 offset:9216                   // 0000000067A0: D9FE2400 7000000C
	buffer_load_dword v49, v229, s[20:23], 0 idxen             // 0000000067A8: E0502000 800531E5
	v_mfma_f32_16x16x16_f16 v[152:155], v[52:53], a[26:27], 0  // 0000000067B0: D3CD0098 12023534
	v_mov_b32_dpp v143, v140 quad_perm:[3,3,3,3] row_mask:0xf bank_mask:0xf// 0000000067B8: 7F1E02FA FF00FF8C
	v_mov_b32_dpp v142, v140 quad_perm:[2,2,2,2] row_mask:0xf bank_mask:0xf// 0000000067C0: 7F1C02FA FF00AA8C
	v_mov_b32_dpp v141, v140 quad_perm:[1,1,1,1] row_mask:0xf bank_mask:0xf// 0000000067C8: 7F1A02FA FF00558C
	v_mov_b32_dpp v140, v140 quad_perm:[0,0,0,0] row_mask:0xf bank_mask:0xf// 0000000067D0: 7F1802FA FF00008C
	v_mfma_f32_16x16x16_f16 v[152:155], v[54:55], a[30:31], v[152:155]// 0000000067D8: D3CD0098 16623D36
	ds_read_b128 v[116:119], v12 offset:10880                  // 0000000067E0: D9FE2A80 7400000C
	buffer_load_dword v50, v230, s[20:23], 0 idxen             // 0000000067E8: E0502000 800532E6
	v_mfma_f32_16x16x16_f16 v[152:155], v[56:57], a[34:35], v[152:155]// 0000000067F0: D3CD0098 16624538
	v_mov_b32_dpp v147, v144 quad_perm:[3,3,3,3] row_mask:0xf bank_mask:0xf// 0000000067F8: 7F2602FA FF00FF90
	v_mov_b32_dpp v146, v144 quad_perm:[2,2,2,2] row_mask:0xf bank_mask:0xf// 000000006800: 7F2402FA FF00AA90
	v_mov_b32_dpp v145, v144 quad_perm:[1,1,1,1] row_mask:0xf bank_mask:0xf// 000000006808: 7F2202FA FF005590
	v_mov_b32_dpp v144, v144 quad_perm:[0,0,0,0] row_mask:0xf bank_mask:0xf// 000000006810: 7F2002FA FF000090
	s_add_u32 s60, 0x80, s59                                   // 000000006818: 803C3BFF 00000080
	v_mfma_f32_16x16x16_f16 v[152:155], v[58:59], a[38:39], v[152:155]// 000000006820: D3CD0098 16624D3A
	ds_read_b128 v[120:123], v12 offset:11392                  // 000000006828: D9FE2C80 7800000C
	buffer_load_dword v51, v231, s[20:23], 0 idxen             // 000000006830: E0502000 800533E7
	v_mfma_f32_16x16x16_f16 v[152:155], v[60:61], a[42:43], v[152:155]// 000000006838: D3CD0098 1662553C
	s_cmp_lt_u32 s60, s58                                      // 000000006840: BF0A3A3C
	s_cselect_b32 s68, s68, 0                                  // 000000006844: 85448044
	s_cselect_b32 s100, s100, 0                                // 000000006848: 85648064
	s_cselect_b32 s69, s69, 0                                  // 00000000684C: 85458045
	v_mfma_f32_16x16x16_f16 v[152:155], v[62:63], a[46:47], v[152:155]// 000000006850: D3CD0098 16625D3E
	buffer_load_dword v11, s[24:27], 0 idxen lds               // 000000006858: E0512000 8006000B
	v_mfma_f32_16x16x16_f16 v[152:155], v[64:65], a[50:51], v[152:155]// 000000006860: D3CD0098 16626540
	v_add_u32_e32 v1, s68, v1                                  // 000000006868: 68020244
	v_add_u32_e32 v2, s68, v2                                  // 00000000686C: 68040444
	v_add_u32_e32 v3, s68, v3                                  // 000000006870: 68060644
	v_add_u32_e32 v4, s68, v4                                  // 000000006874: 68080844
	v_mfma_f32_16x16x16_f16 v[152:155], v[66:67], a[54:55], v[152:155]// 000000006878: D3CD0098 16626D42
	v_add_u32_e32 v228, s100, v228                             // 000000006880: 69C9C864
	v_add_u32_e32 v229, s100, v229                             // 000000006884: 69CBCA64
	v_add_u32_e32 v230, s100, v230                             // 000000006888: 69CDCC64
	v_add_u32_e32 v231, s100, v231                             // 00000000688C: 69CFCE64
	v_mfma_f32_16x16x16_f16 v[152:155], v[68:69], a[58:59], v[152:155]// 000000006890: D3CD0098 16627544
	s_mov_b32 m0, s78                                          // 000000006898: BEFC004E
	v_add_u32_e32 v11, s69, v11                                // 00000000689C: 68161645
	v_mfma_f32_16x16x16_f16 v[152:155], v[70:71], a[62:63], v[152:155]// 0000000068A0: D3CD0098 16627D46
	s_cmp_ge_u32 s59, s73                                      // 0000000068A8: BF09493B
	s_cselect_b32 s66, s67, s66                                // 0000000068AC: 85424243
	v_mfma_f32_16x16x16_f16 v[152:155], v[72:73], a[66:67], v[152:155]// 0000000068B0: D3CD0098 16628548
	s_addk_i32 s59, 0x20                                       // 0000000068B8: B73B0020
	s_nop 0                                                    // 0000000068BC: BF800000
	s_cmp_lt_i32 s59, s58                                      // 0000000068C0: BF043A3B
	v_mfma_f32_16x16x16_f16 v[152:155], v[74:75], a[70:71], v[152:155]// 0000000068C4: D3CD0098 16628D4A
	s_cbranch_scc0 label_0E0B                                  // 0000000068CC: BF8403C5
	s_waitcnt lgkmcnt(4)                                       // 0000000068D0: BF8CC47F
	s_barrier                                                  // 0000000068D4: BF8A0000
	v_mfma_f32_16x16x16_f16 v[52:55], a[96:97], a[0:1], 0      // 0000000068D8: D3CD0034 1A020160
	ds_write_b32 v13, v44 offset:8704                          // 0000000068E0: D81A2200 00002C0D
	ds_write_b32 v13, v45 offset:9760                          // 0000000068E8: D81A2620 00002D0D
	v_mfma_f32_16x16x16_f16 v[52:55], a[98:99], a[2:3], v[52:55]// 0000000068F0: D3CD0034 1CD20562
	v_mul_f32_e32 v148, s47, v148                              // 0000000068F8: 0B29282F
	v_mul_f32_e32 v149, s47, v149                              // 0000000068FC: 0B2B2A2F
	v_mfma_f32_16x16x16_f16 v[52:55], a[100:101], a[4:5], v[52:55]// 000000006900: D3CD0034 1CD20964
	ds_write_b32 v13, v46 offset:10880                         // 000000006908: D81A2A80 00002E0D
	ds_write_b32 v13, v47 offset:11936                         // 000000006910: D81A2EA0 00002F0D
	v_mfma_f32_16x16x16_f16 v[52:55], a[102:103], a[6:7], v[52:55]// 000000006918: D3CD0034 1CD20D66
	v_mul_f32_e32 v150, s47, v150                              // 000000006920: 0B2D2C2F
	v_mul_f32_e32 v151, s47, v151                              // 000000006924: 0B2F2E2F
	v_mfma_f32_16x16x16_f16 v[56:59], a[96:97], a[8:9], 0      // 000000006928: D3CD0038 1A021160
	ds_write_b64 v22, v[148:149] offset:31232                  // 000000006930: D89A7A00 00009416
	v_mfma_f32_16x16x16_f16 v[56:59], a[98:99], a[10:11], v[56:59]// 000000006938: D3CD0038 1CE21562
	v_mul_f32_e32 v152, s47, v152                              // 000000006940: 0B31302F
	v_mul_f32_e32 v153, s47, v153                              // 000000006944: 0B33322F
	v_mfma_f32_16x16x16_f16 v[56:59], a[100:101], a[12:13], v[56:59]// 000000006948: D3CD0038 1CE21964
	ds_write_b64 v22, v[150:151] offset:31744                  // 000000006950: D89A7C00 00009616
	v_mfma_f32_16x16x16_f16 v[56:59], a[102:103], a[14:15], v[56:59]// 000000006958: D3CD0038 1CE21D66
	v_mul_f32_e32 v154, s47, v154                              // 000000006960: 0B35342F
	v_mul_f32_e32 v155, s47, v155                              // 000000006964: 0B37362F
	v_mfma_f32_16x16x16_f16 v[60:63], a[96:97], a[16:17], 0    // 000000006968: D3CD003C 1A022160
	ds_write_b64 v22, v[152:153] offset:32256                  // 000000006970: D89A7E00 00009816
	v_mfma_f32_16x16x16_f16 v[60:63], a[98:99], a[18:19], v[60:63]// 000000006978: D3CD003C 1CF22562
	buffer_atomic_add_f32 v160, v8, s[32:35], 0 idxen          // 000000006980: E1342000 8008A008
	v_mfma_f32_16x16x16_f16 v[60:63], a[100:101], a[20:21], v[60:63]// 000000006988: D3CD003C 1CF22964
	ds_write_b64 v22, v[154:155] offset:32768                  // 000000006990: D89A8000 00009A16
	v_mfma_f32_16x16x16_f16 v[60:63], a[102:103], a[22:23], v[60:63]// 000000006998: D3CD003C 1CF22D66
	v_mfma_f32_16x16x16_f16 v[64:67], a[104:105], a[0:1], 0    // 0000000069A0: D3CD0040 1A020168
	ds_read_b128 v[124:127], v14 offset:13056                  // 0000000069A8: D9FE3300 7C00000E
	ds_write_b32 v13, v36                                      // 0000000069B0: D81A0000 0000240D
	v_mfma_f32_16x16x16_f16 v[64:67], a[106:107], a[2:3], v[64:67]// 0000000069B8: D3CD0040 1D02056A
	buffer_atomic_add_f32 v161, v9, s[32:35], 0 idxen          // 0000000069C0: E1342000 8008A109
	v_mfma_f32_16x16x16_f16 v[64:67], a[108:109], a[4:5], v[64:67]// 0000000069C8: D3CD0040 1D02096C
	v_mfma_f32_16x16x16_f16 v[64:67], a[110:111], a[6:7], v[64:67]// 0000000069D0: D3CD0040 1D020D6E
	ds_read_b128 v[128:131], v14 offset:13568                  // 0000000069D8: D9FE3500 8000000E
	ds_write_b32 v13, v37 offset:1056                          // 0000000069E0: D81A0420 0000250D
	v_mfma_f32_16x16x16_f16 v[68:71], a[104:105], a[8:9], 0    // 0000000069E8: D3CD0044 1A021168
	buffer_atomic_add_f32 v162, v8, s[32:35], 0 idxen offset:128// 0000000069F0: E1342080 8008A208
	v_mfma_f32_16x16x16_f16 v[68:71], a[106:107], a[10:11], v[68:71]// 0000000069F8: D3CD0044 1D12156A
	v_mfma_f32_16x16x16_f16 v[68:71], a[108:109], a[12:13], v[68:71]// 000000006A00: D3CD0044 1D12196C
	ds_read_b128 v[132:135], v14 offset:15232                  // 000000006A08: D9FE3B80 8400000E
	ds_write_b32 v13, v38 offset:2176                          // 000000006A10: D81A0880 0000260D
	v_mfma_f32_16x16x16_f16 v[68:71], a[110:111], a[14:15], v[68:71]// 000000006A18: D3CD0044 1D121D6E
	v_mfma_f32_16x16x16_f16 v[72:75], a[104:105], a[16:17], 0  // 000000006A20: D3CD0048 1A022168
	buffer_atomic_add_f32 v163, v9, s[32:35], 0 idxen offset:128// 000000006A28: E1342080 8008A309
	v_mfma_f32_16x16x16_f16 v[72:75], a[106:107], a[18:19], v[72:75]// 000000006A30: D3CD0048 1D22256A
	ds_read_b128 v[136:139], v14 offset:15744                  // 000000006A38: D9FE3D80 8800000E
	ds_write_b32 v13, v39 offset:3232                          // 000000006A40: D81A0CA0 0000270D
	v_mfma_f32_16x16x16_f16 v[72:75], a[108:109], a[20:21], v[72:75]// 000000006A48: D3CD0048 1D22296C
	v_mfma_f32_16x16x16_f16 v[72:75], a[110:111], a[22:23], v[72:75]// 000000006A50: D3CD0048 1D222D6E
	s_cmp_eq_i32 s80, 0                                        // 000000006A58: BF008050
	s_cbranch_scc1 label_0B9A                                  // 000000006A5C: BF8500F0
	s_cmp_lt_i32 s74, 6                                        // 000000006A60: BF04864A
	s_cbranch_scc0 label_0B21                                  // 000000006A64: BF84007E
	s_lshl_b32 s60, s74, 5                                     // 000000006A68: 8E3C854A
	s_lshl_b32 s61, 0, 4                                       // 000000006A6C: 8E3D8480
	s_add_i32 s60, s60, s61                                    // 000000006A70: 813C3D3C
	v_sub_i32 v32, v232, s60                                   // 000000006A74: D29D0020 000079E8
	s_mov_b32 s61, 0                                           // 000000006A7C: BEBD0080
	v_add_i32 v33, v32, s61                                    // 000000006A80: D29C0021 00007B20
	v_cmp_gt_i32_e64 s[70:71], v33, 0                          // 000000006A88: D0C40046 00010121
	v_cmp_gt_i32_e64 s[82:83], v33, 1                          // 000000006A90: D0C40052 00010321
	v_cndmask_b32_e64 v52, v52, v178, s[70:71]                 // 000000006A98: D1000034 011B6534
	v_cndmask_b32_e64 v53, v53, v178, s[82:83]                 // 000000006AA0: D1000035 014B6535
	v_cmp_gt_i32_e64 s[70:71], v33, 2                          // 000000006AA8: D0C40046 00010521
	v_cmp_gt_i32_e64 s[82:83], v33, 3                          // 000000006AB0: D0C40052 00010721
	v_cndmask_b32_e64 v54, v54, v178, s[70:71]                 // 000000006AB8: D1000036 011B6536
	v_cndmask_b32_e64 v55, v55, v178, s[82:83]                 // 000000006AC0: D1000037 014B6537
	s_mov_b32 s61, 64                                          // 000000006AC8: BEBD00C0
	v_add_i32 v33, v32, s61                                    // 000000006ACC: D29C0021 00007B20
	v_cmp_gt_i32_e64 s[70:71], v33, 0                          // 000000006AD4: D0C40046 00010121
	v_cmp_gt_i32_e64 s[82:83], v33, 1                          // 000000006ADC: D0C40052 00010321
	v_cndmask_b32_e64 v56, v56, v178, s[70:71]                 // 000000006AE4: D1000038 011B6538
	v_cndmask_b32_e64 v57, v57, v178, s[82:83]                 // 000000006AEC: D1000039 014B6539
	v_cmp_gt_i32_e64 s[70:71], v33, 2                          // 000000006AF4: D0C40046 00010521
	v_cmp_gt_i32_e64 s[82:83], v33, 3                          // 000000006AFC: D0C40052 00010721
	v_cndmask_b32_e64 v58, v58, v178, s[70:71]                 // 000000006B04: D100003A 011B653A
	v_cndmask_b32_e64 v59, v59, v178, s[82:83]                 // 000000006B0C: D100003B 014B653B
	s_mov_b32 s61, 0x80                                        // 000000006B14: BEBD00FF 00000080
	v_add_i32 v33, v32, s61                                    // 000000006B1C: D29C0021 00007B20
	v_cmp_gt_i32_e64 s[70:71], v33, 0                          // 000000006B24: D0C40046 00010121
	v_cmp_gt_i32_e64 s[82:83], v33, 1                          // 000000006B2C: D0C40052 00010321
	v_cndmask_b32_e64 v60, v60, v178, s[70:71]                 // 000000006B34: D100003C 011B653C
	v_cndmask_b32_e64 v61, v61, v178, s[82:83]                 // 000000006B3C: D100003D 014B653D
	v_cmp_gt_i32_e64 s[70:71], v33, 2                          // 000000006B44: D0C40046 00010521
	v_cmp_gt_i32_e64 s[82:83], v33, 3                          // 000000006B4C: D0C40052 00010721
	v_cndmask_b32_e64 v62, v62, v178, s[70:71]                 // 000000006B54: D100003E 011B653E
	v_cndmask_b32_e64 v63, v63, v178, s[82:83]                 // 000000006B5C: D100003F 014B653F
	s_lshl_b32 s60, s74, 5                                     // 000000006B64: 8E3C854A
	s_lshl_b32 s61, 1, 4                                       // 000000006B68: 8E3D8481
	s_add_i32 s60, s60, s61                                    // 000000006B6C: 813C3D3C
	v_sub_i32 v32, v232, s60                                   // 000000006B70: D29D0020 000079E8
	s_mov_b32 s61, 0                                           // 000000006B78: BEBD0080
	v_add_i32 v33, v32, s61                                    // 000000006B7C: D29C0021 00007B20
	v_cmp_gt_i32_e64 s[70:71], v33, 0                          // 000000006B84: D0C40046 00010121
	v_cmp_gt_i32_e64 s[82:83], v33, 1                          // 000000006B8C: D0C40052 00010321
	v_cndmask_b32_e64 v64, v64, v178, s[70:71]                 // 000000006B94: D1000040 011B6540
	v_cndmask_b32_e64 v65, v65, v178, s[82:83]                 // 000000006B9C: D1000041 014B6541
	v_cmp_gt_i32_e64 s[70:71], v33, 2                          // 000000006BA4: D0C40046 00010521
	v_cmp_gt_i32_e64 s[82:83], v33, 3                          // 000000006BAC: D0C40052 00010721
	v_cndmask_b32_e64 v66, v66, v178, s[70:71]                 // 000000006BB4: D1000042 011B6542
	v_cndmask_b32_e64 v67, v67, v178, s[82:83]                 // 000000006BBC: D1000043 014B6543
	s_mov_b32 s61, 64                                          // 000000006BC4: BEBD00C0
	v_add_i32 v33, v32, s61                                    // 000000006BC8: D29C0021 00007B20
	v_cmp_gt_i32_e64 s[70:71], v33, 0                          // 000000006BD0: D0C40046 00010121
	v_cmp_gt_i32_e64 s[82:83], v33, 1                          // 000000006BD8: D0C40052 00010321
	v_cndmask_b32_e64 v68, v68, v178, s[70:71]                 // 000000006BE0: D1000044 011B6544
	v_cndmask_b32_e64 v69, v69, v178, s[82:83]                 // 000000006BE8: D1000045 014B6545
	v_cmp_gt_i32_e64 s[70:71], v33, 2                          // 000000006BF0: D0C40046 00010521
	v_cmp_gt_i32_e64 s[82:83], v33, 3                          // 000000006BF8: D0C40052 00010721
	v_cndmask_b32_e64 v70, v70, v178, s[70:71]                 // 000000006C00: D1000046 011B6546
	v_cndmask_b32_e64 v71, v71, v178, s[82:83]                 // 000000006C08: D1000047 014B6547
	s_mov_b32 s61, 0x80                                        // 000000006C10: BEBD00FF 00000080
	v_add_i32 v33, v32, s61                                    // 000000006C18: D29C0021 00007B20
	v_cmp_gt_i32_e64 s[70:71], v33, 0                          // 000000006C20: D0C40046 00010121
	v_cmp_gt_i32_e64 s[82:83], v33, 1                          // 000000006C28: D0C40052 00010321
	v_cndmask_b32_e64 v72, v72, v178, s[70:71]                 // 000000006C30: D1000048 011B6548
	v_cndmask_b32_e64 v73, v73, v178, s[82:83]                 // 000000006C38: D1000049 014B6549
	v_cmp_gt_i32_e64 s[70:71], v33, 2                          // 000000006C40: D0C40046 00010521
	v_cmp_gt_i32_e64 s[82:83], v33, 3                          // 000000006C48: D0C40052 00010721
	v_cndmask_b32_e64 v74, v74, v178, s[70:71]                 // 000000006C50: D100004A 011B654A
	v_cndmask_b32_e64 v75, v75, v178, s[82:83]                 // 000000006C58: D100004B 014B654B

0000000000006c60 <label_0B21>:
	s_cmp_lt_i32 s84, 0xc0                                     // 000000006C60: BF04FF54 000000C0
	s_cbranch_scc0 label_0B9A                                  // 000000006C68: BF84006D
	s_cmp_le_i32 s84, 64                                       // 000000006C6C: BF05C054
	s_cbranch_scc1 label_0B2D                                  // 000000006C70: BF850007
	s_cmp_le_i32 s84, 0x80                                     // 000000006C74: BF05FF54 00000080
	s_cbranch_scc1 label_0B51                                  // 000000006C7C: BF85001F
	s_cmp_lt_i32 s84, 0xc0                                     // 000000006C80: BF04FF54 000000C0
	s_cbranch_scc1 label_0B75                                  // 000000006C88: BF850040
	s_branch label_0B9A                                        // 000000006C8C: BF820064

0000000000006c90 <label_0B2D>:
	s_mov_b32 s60, 0                                           // 000000006C90: BEBC0080
	v_and_b32_e32 v32, 15, v0                                  // 000000006C94: 2640008F
	v_add_u32_e64 v32, v32, s60                                // 000000006C98: D1340020 00007920
	v_mul_i32_i24_e64 v33, s46, 16                             // 000000006CA0: D1060021 0001202E
	v_add_u32_e32 v32, v32, v33                                // 000000006CA8: 68404320
	v_cmp_lt_u32_e64 s[60:61], v32, s84                        // 000000006CAC: D0C9003C 0000A920
	s_nop 1                                                    // 000000006CB4: BF800001
	v_cndmask_b32_e64 v52, v178, v52, s[60:61]                 // 000000006CB8: D1000034 00F269B2
	v_cndmask_b32_e64 v64, v178, v64, s[60:61]                 // 000000006CC0: D1000040 00F281B2
	v_cndmask_b32_e64 v53, v178, v53, s[60:61]                 // 000000006CC8: D1000035 00F26BB2
	v_cndmask_b32_e64 v65, v178, v65, s[60:61]                 // 000000006CD0: D1000041 00F283B2
	v_cndmask_b32_e64 v54, v178, v54, s[60:61]                 // 000000006CD8: D1000036 00F26DB2
	v_cndmask_b32_e64 v66, v178, v66, s[60:61]                 // 000000006CE0: D1000042 00F285B2
	v_cndmask_b32_e64 v55, v178, v55, s[60:61]                 // 000000006CE8: D1000037 00F26FB2
	v_cndmask_b32_e64 v67, v178, v67, s[60:61]                 // 000000006CF0: D1000043 00F287B2
	s_branch label_0B6C                                        // 000000006CF8: BF82001B

0000000000006cfc <label_0B51>:
	s_mov_b32 s60, 64                                          // 000000006CFC: BEBC00C0
	v_and_b32_e32 v32, 15, v0                                  // 000000006D00: 2640008F
	v_add_u32_e64 v32, v32, s60                                // 000000006D04: D1340020 00007920
	v_mul_i32_i24_e64 v33, s46, 16                             // 000000006D0C: D1060021 0001202E
	v_add_u32_e32 v32, v32, v33                                // 000000006D14: 68404320
	v_cmp_lt_u32_e64 s[60:61], v32, s84                        // 000000006D18: D0C9003C 0000A920
	s_nop 1                                                    // 000000006D20: BF800001
	v_cndmask_b32_e64 v56, v178, v56, s[60:61]                 // 000000006D24: D1000038 00F271B2
	v_cndmask_b32_e64 v68, v178, v68, s[60:61]                 // 000000006D2C: D1000044 00F289B2
	v_cndmask_b32_e64 v57, v178, v57, s[60:61]                 // 000000006D34: D1000039 00F273B2
	v_cndmask_b32_e64 v69, v178, v69, s[60:61]                 // 000000006D3C: D1000045 00F28BB2
	v_cndmask_b32_e64 v58, v178, v58, s[60:61]                 // 000000006D44: D100003A 00F275B2
	v_cndmask_b32_e64 v70, v178, v70, s[60:61]                 // 000000006D4C: D1000046 00F28DB2
	v_cndmask_b32_e64 v59, v178, v59, s[60:61]                 // 000000006D54: D100003B 00F277B2
	v_cndmask_b32_e64 v71, v178, v71, s[60:61]                 // 000000006D5C: D1000047 00F28FB2
	s_branch label_0B91                                        // 000000006D64: BF820025

0000000000006d68 <label_0B6C>:
	v_mov_b32_e32 v56, v178                                    // 000000006D68: 7E7003B2
	v_mov_b32_e32 v68, v178                                    // 000000006D6C: 7E8803B2
	v_mov_b32_e32 v57, v178                                    // 000000006D70: 7E7203B2
	v_mov_b32_e32 v69, v178                                    // 000000006D74: 7E8A03B2
	v_mov_b32_e32 v58, v178                                    // 000000006D78: 7E7403B2
	v_mov_b32_e32 v70, v178                                    // 000000006D7C: 7E8C03B2
	v_mov_b32_e32 v59, v178                                    // 000000006D80: 7E7603B2
	v_mov_b32_e32 v71, v178                                    // 000000006D84: 7E8E03B2
	s_branch label_0B91                                        // 000000006D88: BF82001C

0000000000006d8c <label_0B75>:
	s_mov_b32 s60, 0x80                                        // 000000006D8C: BEBC00FF 00000080
	v_and_b32_e32 v32, 15, v0                                  // 000000006D94: 2640008F
	v_add_u32_e64 v32, v32, s60                                // 000000006D98: D1340020 00007920
	v_mul_i32_i24_e64 v33, s46, 16                             // 000000006DA0: D1060021 0001202E
	v_add_u32_e32 v32, v32, v33                                // 000000006DA8: 68404320
	v_cmp_lt_u32_e64 s[60:61], v32, s84                        // 000000006DAC: D0C9003C 0000A920
	s_nop 1                                                    // 000000006DB4: BF800001
	v_cndmask_b32_e64 v60, v178, v60, s[60:61]                 // 000000006DB8: D100003C 00F279B2
	v_cndmask_b32_e64 v72, v178, v72, s[60:61]                 // 000000006DC0: D1000048 00F291B2
	v_cndmask_b32_e64 v61, v178, v61, s[60:61]                 // 000000006DC8: D100003D 00F27BB2
	v_cndmask_b32_e64 v73, v178, v73, s[60:61]                 // 000000006DD0: D1000049 00F293B2
	v_cndmask_b32_e64 v62, v178, v62, s[60:61]                 // 000000006DD8: D100003E 00F27DB2
	v_cndmask_b32_e64 v74, v178, v74, s[60:61]                 // 000000006DE0: D100004A 00F295B2
	v_cndmask_b32_e64 v63, v178, v63, s[60:61]                 // 000000006DE8: D100003F 00F27FB2
	v_cndmask_b32_e64 v75, v178, v75, s[60:61]                 // 000000006DF0: D100004B 00F297B2
	s_branch label_0B9A                                        // 000000006DF8: BF820009

0000000000006dfc <label_0B91>:
	v_mov_b32_e32 v60, v178                                    // 000000006DFC: 7E7803B2
	v_mov_b32_e32 v72, v178                                    // 000000006E00: 7E9003B2
	v_mov_b32_e32 v61, v178                                    // 000000006E04: 7E7A03B2
	v_mov_b32_e32 v73, v178                                    // 000000006E08: 7E9203B2
	v_mov_b32_e32 v62, v178                                    // 000000006E0C: 7E7C03B2
	v_mov_b32_e32 v74, v178                                    // 000000006E10: 7E9403B2
	v_mov_b32_e32 v63, v178                                    // 000000006E14: 7E7E03B2
	v_mov_b32_e32 v75, v178                                    // 000000006E18: 7E9603B2
	s_branch label_0B9A                                        // 000000006E1C: BF820000

0000000000006e20 <label_0B9A>:
	s_addk_i32 s74, 0x1                                        // 000000006E20: B74A0001
	s_waitcnt lgkmcnt(8)                                       // 000000006E24: BF8CC87F
	s_barrier                                                  // 000000006E28: BF8A0000
	v_mfma_f32_16x16x16_f16 v[76:79], v[108:109], a[72:73], 0  // 000000006E2C: D3CD004C 1202916C
	ds_read_b128 a[96:99], v14 offset:4352                     // 000000006E34: DBFE1100 6000000E
	ds_read_b128 a[100:103], v14 offset:4864                   // 000000006E3C: DBFE1300 6400000E
	v_mfma_f32_16x16x16_f16 v[76:79], v[110:111], a[74:75], v[76:79]// 000000006E44: D3CD004C 1532956E
	v_fma_f32 v52, v52, s57, -v140                             // 000000006E4C: D1CB0034 86307334
	v_fma_f32 v53, v53, s57, -v141                             // 000000006E54: D1CB0035 86347335
	v_fma_f32 v54, v54, s57, -v142                             // 000000006E5C: D1CB0036 86387336
	v_fma_f32 v55, v55, s57, -v143                             // 000000006E64: D1CB0037 863C7337
	v_fma_f32 v56, v56, s57, -v140                             // 000000006E6C: D1CB0038 86307338
	v_fma_f32 v57, v57, s57, -v141                             // 000000006E74: D1CB0039 86347339
	v_mfma_f32_16x16x16_f16 v[76:79], v[112:113], a[76:77], v[76:79]// 000000006E7C: D3CD004C 15329970
	v_fma_f32 v58, v58, s57, -v142                             // 000000006E84: D1CB003A 8638733A
	v_fma_f32 v59, v59, s57, -v143                             // 000000006E8C: D1CB003B 863C733B
	v_fma_f32 v60, v60, s57, -v140                             // 000000006E94: D1CB003C 8630733C
	v_fma_f32 v61, v61, s57, -v141                             // 000000006E9C: D1CB003D 8634733D
	v_fma_f32 v62, v62, s57, -v142                             // 000000006EA4: D1CB003E 8638733E
	v_fma_f32 v63, v63, s57, -v143                             // 000000006EAC: D1CB003F 863C733F
	v_mfma_f32_16x16x16_f16 v[76:79], v[114:115], a[78:79], v[76:79]// 000000006EB4: D3CD004C 15329D72
	v_fma_f32 v64, v64, s57, -v144                             // 000000006EBC: D1CB0040 86407340
	v_fma_f32 v65, v65, s57, -v145                             // 000000006EC4: D1CB0041 86447341
	v_fma_f32 v66, v66, s57, -v146                             // 000000006ECC: D1CB0042 86487342
	v_fma_f32 v67, v67, s57, -v147                             // 000000006ED4: D1CB0043 864C7343
	v_fma_f32 v68, v68, s57, -v144                             // 000000006EDC: D1CB0044 86407344
	v_fma_f32 v69, v69, s57, -v145                             // 000000006EE4: D1CB0045 86447345
	v_mfma_f32_16x16x16_f16 v[80:83], v[108:109], a[80:81], 0  // 000000006EEC: D3CD0050 1202A16C
	ds_read_b128 a[104:107], v14 offset:6528                   // 000000006EF4: DBFE1980 6800000E
	ds_read_b128 a[108:111], v14 offset:7040                   // 000000006EFC: DBFE1B80 6C00000E
	v_mfma_f32_16x16x16_f16 v[80:83], v[110:111], a[82:83], v[80:83]// 000000006F04: D3CD0050 1542A56E
	v_fma_f32 v70, v70, s57, -v146                             // 000000006F0C: D1CB0046 86487346
	v_fma_f32 v71, v71, s57, -v147                             // 000000006F14: D1CB0047 864C7347
	v_fma_f32 v72, v72, s57, -v144                             // 000000006F1C: D1CB0048 86407348
	v_fma_f32 v73, v73, s57, -v145                             // 000000006F24: D1CB0049 86447349
	v_fma_f32 v74, v74, s57, -v146                             // 000000006F2C: D1CB004A 8648734A
	v_fma_f32 v75, v75, s57, -v147                             // 000000006F34: D1CB004B 864C734B
	v_mfma_f32_16x16x16_f16 v[80:83], v[112:113], a[84:85], v[80:83]// 000000006F3C: D3CD0050 1542A970
	v_exp_f32_e32 v52, v52                                     // 000000006F44: 7E684134
	v_exp_f32_e32 v53, v53                                     // 000000006F48: 7E6A4135
	v_mfma_f32_16x16x16_f16 v[80:83], v[114:115], a[86:87], v[80:83]// 000000006F4C: D3CD0050 1542AD72
	v_exp_f32_e32 v54, v54                                     // 000000006F54: 7E6C4136
	v_exp_f32_e32 v55, v55                                     // 000000006F58: 7E6E4137
	v_mfma_f32_16x16x16_f16 v[84:87], v[108:109], a[88:89], 0  // 000000006F5C: D3CD0054 1202B16C
	ds_read_b64 v[156:157], v21 offset:31232                   // 000000006F64: D8EC7A00 9C000015
	ds_read_b64 v[158:159], v21 offset:33280                   // 000000006F6C: D8EC8200 9E000015
	v_mfma_f32_16x16x16_f16 v[84:87], v[110:111], a[90:91], v[84:87]// 000000006F74: D3CD0054 1552B56E
	v_exp_f32_e32 v56, v56                                     // 000000006F7C: 7E704138
	v_exp_f32_e32 v57, v57                                     // 000000006F80: 7E724139
	v_mfma_f32_16x16x16_f16 v[84:87], v[112:113], a[92:93], v[84:87]// 000000006F84: D3CD0054 1552B970
	ds_read_b64 v[160:161], v21 offset:35328                   // 000000006F8C: D8EC8A00 A0000015
	ds_read_b64 v[162:163], v21 offset:37376                   // 000000006F94: D8EC9200 A2000015
	v_mfma_f32_16x16x16_f16 v[84:87], v[114:115], a[94:95], v[84:87]// 000000006F9C: D3CD0054 1552BD72
	v_exp_f32_e32 v58, v58                                     // 000000006FA4: 7E74413A
	v_exp_f32_e32 v59, v59                                     // 000000006FA8: 7E76413B
	v_mfma_f32_16x16x16_f16 v[88:91], v[116:117], a[72:73], 0  // 000000006FAC: D3CD0058 12029174
	v_exp_f32_e32 v60, v60                                     // 000000006FB4: 7E78413C
	v_exp_f32_e32 v61, v61                                     // 000000006FB8: 7E7A413D
	v_mfma_f32_16x16x16_f16 v[88:91], v[118:119], a[74:75], v[88:91]// 000000006FBC: D3CD0058 15629576
	v_exp_f32_e32 v62, v62                                     // 000000006FC4: 7E7C413E
	v_exp_f32_e32 v63, v63                                     // 000000006FC8: 7E7E413F
	v_mfma_f32_16x16x16_f16 v[88:91], v[120:121], a[76:77], v[88:91]// 000000006FCC: D3CD0058 15629978
	v_exp_f32_e32 v64, v64                                     // 000000006FD4: 7E804140
	v_exp_f32_e32 v65, v65                                     // 000000006FD8: 7E824141
	v_mfma_f32_16x16x16_f16 v[88:91], v[122:123], a[78:79], v[88:91]// 000000006FDC: D3CD0058 15629D7A
	v_exp_f32_e32 v66, v66                                     // 000000006FE4: 7E844142
	v_exp_f32_e32 v67, v67                                     // 000000006FE8: 7E864143
	v_mfma_f32_16x16x16_f16 v[92:95], v[116:117], a[80:81], 0  // 000000006FEC: D3CD005C 1202A174
	v_exp_f32_e32 v68, v68                                     // 000000006FF4: 7E884144
	v_exp_f32_e32 v69, v69                                     // 000000006FF8: 7E8A4145
	v_mfma_f32_16x16x16_f16 v[92:95], v[118:119], a[82:83], v[92:95]// 000000006FFC: D3CD005C 1572A576
	v_exp_f32_e32 v70, v70                                     // 000000007004: 7E8C4146
	v_exp_f32_e32 v71, v71                                     // 000000007008: 7E8E4147
	v_mfma_f32_16x16x16_f16 v[92:95], v[120:121], a[84:85], v[92:95]// 00000000700C: D3CD005C 1572A978
	v_exp_f32_e32 v72, v72                                     // 000000007014: 7E904148
	v_exp_f32_e32 v73, v73                                     // 000000007018: 7E924149
	v_mfma_f32_16x16x16_f16 v[92:95], v[122:123], a[86:87], v[92:95]// 00000000701C: D3CD005C 1572AD7A
	v_exp_f32_e32 v74, v74                                     // 000000007024: 7E94414A
	v_exp_f32_e32 v75, v75                                     // 000000007028: 7E96414B
	v_mfma_f32_16x16x16_f16 v[96:99], v[116:117], a[88:89], 0  // 00000000702C: D3CD0060 1202B174
	v_cvt_pkrtz_f16_f32 v164, v52, v53                         // 000000007034: D29600A4 00026B34
	v_cvt_pkrtz_f16_f32 v165, v54, v55                         // 00000000703C: D29600A5 00026F36
	v_cvt_pkrtz_f16_f32 v166, v56, v57                         // 000000007044: D29600A6 00027338
	v_cvt_pkrtz_f16_f32 v167, v58, v59                         // 00000000704C: D29600A7 0002773A
	v_cvt_pkrtz_f16_f32 v168, v60, v61                         // 000000007054: D29600A8 00027B3C
	v_cvt_pkrtz_f16_f32 v169, v62, v63                         // 00000000705C: D29600A9 00027F3E
	v_mfma_f32_16x16x16_f16 v[96:99], v[118:119], a[90:91], v[96:99]// 000000007064: D3CD0060 1582B576
	v_cvt_pkrtz_f16_f32 v170, v64, v65                         // 00000000706C: D29600AA 00028340
	v_cvt_pkrtz_f16_f32 v171, v66, v67                         // 000000007074: D29600AB 00028742
	v_cvt_pkrtz_f16_f32 v172, v68, v69                         // 00000000707C: D29600AC 00028B44
	v_cvt_pkrtz_f16_f32 v173, v70, v71                         // 000000007084: D29600AD 00028F46
	v_cvt_pkrtz_f16_f32 v174, v72, v73                         // 00000000708C: D29600AE 00029348
	v_cvt_pkrtz_f16_f32 v175, v74, v75                         // 000000007094: D29600AF 0002974A
	v_mfma_f32_16x16x16_f16 v[96:99], v[120:121], a[92:93], v[96:99]// 00000000709C: D3CD0060 1582B978
	v_add_u32_e32 v6, s66, v6                                  // 0000000070A4: 680C0C42
	v_add_u32_e32 v7, s66, v7                                  // 0000000070A8: 680E0E42
	v_add_u32_e32 v8, s66, v8                                  // 0000000070AC: 68101042
	v_add_u32_e32 v9, s66, v9                                  // 0000000070B0: 68121242
	v_mfma_f32_16x16x16_f16 v[96:99], v[122:123], a[94:95], v[96:99]// 0000000070B4: D3CD0060 1582BD7A
	s_waitcnt lgkmcnt(0)                                       // 0000000070BC: BF8CC07F
	s_barrier                                                  // 0000000070C0: BF8A0000
	v_mfma_f32_16x16x16_f16 v[180:183], v[124:125], v[164:165], v[180:183]// 0000000070C4: D3CD00B4 06D3497C
	v_subrev_f32_dpp v76, v176, v76 quad_perm:[0,0,0,0] row_mask:0xf bank_mask:0xf// 0000000070CC: 069898FA FF0000B0
	v_subrev_f32_dpp v77, v176, v77 quad_perm:[1,1,1,1] row_mask:0xf bank_mask:0xf// 0000000070D4: 069A9AFA FF0055B0
	v_subrev_f32_dpp v78, v176, v78 quad_perm:[2,2,2,2] row_mask:0xf bank_mask:0xf// 0000000070DC: 069C9CFA FF00AAB0
	v_subrev_f32_dpp v79, v176, v79 quad_perm:[3,3,3,3] row_mask:0xf bank_mask:0xf// 0000000070E4: 069E9EFA FF00FFB0
	v_subrev_f32_dpp v80, v176, v80 quad_perm:[0,0,0,0] row_mask:0xf bank_mask:0xf// 0000000070EC: 06A0A0FA FF0000B0
	v_subrev_f32_dpp v81, v176, v81 quad_perm:[1,1,1,1] row_mask:0xf bank_mask:0xf// 0000000070F4: 06A2A2FA FF0055B0
	v_mfma_f32_16x16x16_f16 v[184:187], v[126:127], v[164:165], v[184:187]// 0000000070FC: D3CD00B8 06E3497E
	v_subrev_f32_dpp v82, v176, v82 quad_perm:[2,2,2,2] row_mask:0xf bank_mask:0xf// 000000007104: 06A4A4FA FF00AAB0
	v_subrev_f32_dpp v83, v176, v83 quad_perm:[3,3,3,3] row_mask:0xf bank_mask:0xf// 00000000710C: 06A6A6FA FF00FFB0
	v_subrev_f32_dpp v84, v176, v84 quad_perm:[0,0,0,0] row_mask:0xf bank_mask:0xf// 000000007114: 06A8A8FA FF0000B0
	v_subrev_f32_dpp v85, v176, v85 quad_perm:[1,1,1,1] row_mask:0xf bank_mask:0xf// 00000000711C: 06AAAAFA FF0055B0
	v_subrev_f32_dpp v86, v176, v86 quad_perm:[2,2,2,2] row_mask:0xf bank_mask:0xf// 000000007124: 06ACACFA FF00AAB0
	v_subrev_f32_dpp v87, v176, v87 quad_perm:[3,3,3,3] row_mask:0xf bank_mask:0xf// 00000000712C: 06AEAEFA FF00FFB0
	v_mfma_f32_16x16x16_f16 v[188:191], v[128:129], v[164:165], v[188:191]// 000000007134: D3CD00BC 06F34980
	v_mul_f32_e32 v76, v52, v76                                // 00000000713C: 0A989934
	v_mul_f32_e32 v77, v53, v77                                // 000000007140: 0A9A9B35
	v_mul_f32_e32 v78, v54, v78                                // 000000007144: 0A9C9D36
	v_mul_f32_e32 v79, v55, v79                                // 000000007148: 0A9E9F37
	v_mul_f32_e32 v80, v56, v80                                // 00000000714C: 0AA0A138
	v_mul_f32_e32 v81, v57, v81                                // 000000007150: 0AA2A339
	v_mfma_f32_16x16x16_f16 v[192:195], v[130:131], v[164:165], v[192:195]// 000000007154: D3CD00C0 07034982
	v_mul_f32_e32 v82, v58, v82                                // 00000000715C: 0AA4A53A
	v_mul_f32_e32 v83, v59, v83                                // 000000007160: 0AA6A73B
	v_mul_f32_e32 v84, v60, v84                                // 000000007164: 0AA8A93C
	v_mul_f32_e32 v85, v61, v85                                // 000000007168: 0AAAAB3D
	v_mul_f32_e32 v86, v62, v86                                // 00000000716C: 0AACAD3E
	v_mul_f32_e32 v87, v63, v87                                // 000000007170: 0AAEAF3F
	v_mfma_f32_16x16x16_f16 v[196:199], v[124:125], v[166:167], v[196:199]// 000000007174: D3CD00C4 07134D7C
	v_cvt_pkrtz_f16_f32 v76, v76, v77                          // 00000000717C: D296004C 00029B4C
	v_cvt_pkrtz_f16_f32 v77, v78, v79                          // 000000007184: D296004D 00029F4E
	v_cvt_pkrtz_f16_f32 v78, v80, v81                          // 00000000718C: D296004E 0002A350
	v_cvt_pkrtz_f16_f32 v79, v82, v83                          // 000000007194: D296004F 0002A752
	v_cvt_pkrtz_f16_f32 v80, v84, v85                          // 00000000719C: D2960050 0002AB54
	v_cvt_pkrtz_f16_f32 v81, v86, v87                          // 0000000071A4: D2960051 0002AF56
	v_mfma_f32_16x16x16_f16 v[200:203], v[126:127], v[166:167], v[200:203]// 0000000071AC: D3CD00C8 07234D7E
	v_mov_b32_dpp v18, v76 quad_perm:[1,0,3,2] row_mask:0xf bank_mask:0xf// 0000000071B4: 7E2402FA FF00B14C
	v_perm_b32 v52, v18, v76, v17                              // 0000000071BC: D1ED0034 04469912
	v_mov_b32_dpp v18, v77 quad_perm:[1,0,3,2] row_mask:0xf bank_mask:0xf// 0000000071C4: 7E2402FA FF00B14D
	v_perm_b32 v53, v18, v77, v17                              // 0000000071CC: D1ED0035 04469B12
	v_mov_b32_dpp v18, v78 quad_perm:[1,0,3,2] row_mask:0xf bank_mask:0xf// 0000000071D4: 7E2402FA FF00B14E
	v_perm_b32 v54, v18, v78, v17                              // 0000000071DC: D1ED0036 04469D12
	v_mfma_f32_16x16x16_f16 v[204:207], v[128:129], v[166:167], v[204:207]// 0000000071E4: D3CD00CC 07334D80
	v_mov_b32_dpp v18, v79 quad_perm:[1,0,3,2] row_mask:0xf bank_mask:0xf// 0000000071EC: 7E2402FA FF00B14F
	v_perm_b32 v55, v18, v79, v17                              // 0000000071F4: D1ED0037 04469F12
	v_mov_b32_dpp v18, v80 quad_perm:[1,0,3,2] row_mask:0xf bank_mask:0xf// 0000000071FC: 7E2402FA FF00B150
	v_perm_b32 v56, v18, v80, v17                              // 000000007204: D1ED0038 0446A112
	v_mov_b32_dpp v18, v81 quad_perm:[1,0,3,2] row_mask:0xf bank_mask:0xf// 00000000720C: 7E2402FA FF00B151
	v_perm_b32 v57, v18, v81, v17                              // 000000007214: D1ED0039 0446A312
	v_mfma_f32_16x16x16_f16 v[208:211], v[130:131], v[166:167], v[208:211]// 00000000721C: D3CD00D0 07434D82
	ds_write_b32 v20, v52 offset:17408                         // 000000007224: D81A4400 00003414
	ds_write_b32 v20, v53 offset:17952                         // 00000000722C: D81A4620 00003514
	v_mfma_f32_16x16x16_f16 v[212:215], v[124:125], v[168:169], v[212:215]// 000000007234: D3CD00D4 0753517C
	v_subrev_f32_dpp v88, v177, v88 quad_perm:[0,0,0,0] row_mask:0xf bank_mask:0xf// 00000000723C: 06B0B0FA FF0000B1
	v_subrev_f32_dpp v89, v177, v89 quad_perm:[1,1,1,1] row_mask:0xf bank_mask:0xf// 000000007244: 06B2B2FA FF0055B1
	v_subrev_f32_dpp v90, v177, v90 quad_perm:[2,2,2,2] row_mask:0xf bank_mask:0xf// 00000000724C: 06B4B4FA FF00AAB1
	v_subrev_f32_dpp v91, v177, v91 quad_perm:[3,3,3,3] row_mask:0xf bank_mask:0xf// 000000007254: 06B6B6FA FF00FFB1
	v_subrev_f32_dpp v92, v177, v92 quad_perm:[0,0,0,0] row_mask:0xf bank_mask:0xf// 00000000725C: 06B8B8FA FF0000B1
	v_subrev_f32_dpp v93, v177, v93 quad_perm:[1,1,1,1] row_mask:0xf bank_mask:0xf// 000000007264: 06BABAFA FF0055B1
	v_mfma_f32_16x16x16_f16 v[216:219], v[126:127], v[168:169], v[216:219]// 00000000726C: D3CD00D8 0763517E
	ds_write_b32 v20, v54 offset:19712                         // 000000007274: D81A4D00 00003614
	ds_write_b32 v20, v55 offset:20256                         // 00000000727C: D81A4F20 00003714
	v_mfma_f32_16x16x16_f16 v[220:223], v[128:129], v[168:169], v[220:223]// 000000007284: D3CD00DC 07735180
	v_subrev_f32_dpp v94, v177, v94 quad_perm:[2,2,2,2] row_mask:0xf bank_mask:0xf// 00000000728C: 06BCBCFA FF00AAB1
	v_subrev_f32_dpp v95, v177, v95 quad_perm:[3,3,3,3] row_mask:0xf bank_mask:0xf// 000000007294: 06BEBEFA FF00FFB1
	v_subrev_f32_dpp v96, v177, v96 quad_perm:[0,0,0,0] row_mask:0xf bank_mask:0xf// 00000000729C: 06C0C0FA FF0000B1
	v_subrev_f32_dpp v97, v177, v97 quad_perm:[1,1,1,1] row_mask:0xf bank_mask:0xf// 0000000072A4: 06C2C2FA FF0055B1
	v_subrev_f32_dpp v98, v177, v98 quad_perm:[2,2,2,2] row_mask:0xf bank_mask:0xf// 0000000072AC: 06C4C4FA FF00AAB1
	v_subrev_f32_dpp v99, v177, v99 quad_perm:[3,3,3,3] row_mask:0xf bank_mask:0xf// 0000000072B4: 06C6C6FA FF00FFB1
	v_mfma_f32_16x16x16_f16 v[224:227], v[130:131], v[168:169], v[224:227]// 0000000072BC: D3CD00E0 07835182
	ds_write_b32 v20, v56 offset:22016                         // 0000000072C4: D81A5600 00003814
	ds_write_b32 v20, v57 offset:22560                         // 0000000072CC: D81A5820 00003914
	v_mfma_f32_16x16x16_f16 v[180:183], v[132:133], v[170:171], v[180:183]// 0000000072D4: D3CD00B4 06D35584
	v_mul_f32_e32 v88, v64, v88                                // 0000000072DC: 0AB0B140
	v_mul_f32_e32 v89, v65, v89                                // 0000000072E0: 0AB2B341
	v_mul_f32_e32 v90, v66, v90                                // 0000000072E4: 0AB4B542
	v_mul_f32_e32 v91, v67, v91                                // 0000000072E8: 0AB6B743
	v_mul_f32_e32 v92, v68, v92                                // 0000000072EC: 0AB8B944
	v_mul_f32_e32 v93, v69, v93                                // 0000000072F0: 0ABABB45
	v_mfma_f32_16x16x16_f16 v[184:187], v[134:135], v[170:171], v[184:187]// 0000000072F4: D3CD00B8 06E35586
	v_mul_f32_e32 v94, v70, v94                                // 0000000072FC: 0ABCBD46
	v_mul_f32_e32 v95, v71, v95                                // 000000007300: 0ABEBF47
	v_mul_f32_e32 v96, v72, v96                                // 000000007304: 0AC0C148
	v_mul_f32_e32 v97, v73, v97                                // 000000007308: 0AC2C349
	v_mul_f32_e32 v98, v74, v98                                // 00000000730C: 0AC4C54A
	v_mul_f32_e32 v99, v75, v99                                // 000000007310: 0AC6C74B
	v_mfma_f32_16x16x16_f16 v[188:191], v[136:137], v[170:171], v[188:191]// 000000007314: D3CD00BC 06F35588
	v_cvt_pkrtz_f16_f32 v82, v88, v89                          // 00000000731C: D2960052 0002B358
	v_cvt_pkrtz_f16_f32 v83, v90, v91                          // 000000007324: D2960053 0002B75A
	v_cvt_pkrtz_f16_f32 v84, v92, v93                          // 00000000732C: D2960054 0002BB5C
	v_cvt_pkrtz_f16_f32 v85, v94, v95                          // 000000007334: D2960055 0002BF5E
	v_cvt_pkrtz_f16_f32 v86, v96, v97                          // 00000000733C: D2960056 0002C360
	v_cvt_pkrtz_f16_f32 v87, v98, v99                          // 000000007344: D2960057 0002C762
	v_mfma_f32_16x16x16_f16 v[192:195], v[138:139], v[170:171], v[192:195]// 00000000734C: D3CD00C0 0703558A
	v_mov_b32_dpp v18, v82 quad_perm:[1,0,3,2] row_mask:0xf bank_mask:0xf// 000000007354: 7E2402FA FF00B152
	v_perm_b32 v58, v18, v82, v17                              // 00000000735C: D1ED003A 0446A512
	v_mov_b32_dpp v18, v83 quad_perm:[1,0,3,2] row_mask:0xf bank_mask:0xf// 000000007364: 7E2402FA FF00B153
	v_perm_b32 v59, v18, v83, v17                              // 00000000736C: D1ED003B 0446A712
	v_mov_b32_dpp v18, v84 quad_perm:[1,0,3,2] row_mask:0xf bank_mask:0xf// 000000007374: 7E2402FA FF00B154
	v_perm_b32 v60, v18, v84, v17                              // 00000000737C: D1ED003C 0446A912
	v_mfma_f32_16x16x16_f16 v[196:199], v[132:133], v[172:173], v[196:199]// 000000007384: D3CD00C4 07135984
	v_mov_b32_dpp v18, v85 quad_perm:[1,0,3,2] row_mask:0xf bank_mask:0xf// 00000000738C: 7E2402FA FF00B155
	v_perm_b32 v61, v18, v85, v17                              // 000000007394: D1ED003D 0446AB12
	v_mov_b32_dpp v18, v86 quad_perm:[1,0,3,2] row_mask:0xf bank_mask:0xf// 00000000739C: 7E2402FA FF00B156
	v_perm_b32 v62, v18, v86, v17                              // 0000000073A4: D1ED003E 0446AD12
	v_mov_b32_dpp v18, v87 quad_perm:[1,0,3,2] row_mask:0xf bank_mask:0xf// 0000000073AC: 7E2402FA FF00B157
	v_perm_b32 v63, v18, v87, v17                              // 0000000073B4: D1ED003F 0446AF12
	v_mfma_f32_16x16x16_f16 v[200:203], v[134:135], v[172:173], v[200:203]// 0000000073BC: D3CD00C8 07235986
	ds_write_b32 v20, v58 offset:24320                         // 0000000073C4: D81A5F00 00003A14
	ds_write_b32 v20, v59 offset:24864                         // 0000000073CC: D81A6120 00003B14
	v_mfma_f32_16x16x16_f16 v[204:207], v[136:137], v[172:173], v[204:207]// 0000000073D4: D3CD00CC 07335988
	v_mfma_f32_16x16x16_f16 v[208:211], v[138:139], v[172:173], v[208:211]// 0000000073DC: D3CD00D0 0743598A
	ds_write_b32 v20, v60 offset:26624                         // 0000000073E4: D81A6800 00003C14
	ds_write_b32 v20, v61 offset:27168                         // 0000000073EC: D81A6A20 00003D14
	ds_write_b32 v20, v62 offset:28928                         // 0000000073F4: D81A7100 00003E14
	ds_write_b32 v20, v63 offset:29472                         // 0000000073FC: D81A7320 00003F14
	v_mfma_f32_16x16x16_f16 v[212:215], v[132:133], v[174:175], v[212:215]// 000000007404: D3CD00D4 07535D84
	v_mfma_f32_16x16x16_f16 v[216:219], v[134:135], v[174:175], v[216:219]// 00000000740C: D3CD00D8 07635D86
	ds_write_b32 v15, v100 offset:4352                         // 000000007414: D81A1100 0000640F
	ds_write_b32 v15, v101 offset:5408                         // 00000000741C: D81A1520 0000650F
	v_mfma_f32_16x16x16_f16 v[220:223], v[136:137], v[174:175], v[220:223]// 000000007424: D3CD00DC 07735D88
	s_nop 0                                                    // 00000000742C: BF800000
	s_nop 0                                                    // 000000007430: BF800000
	s_nop 0                                                    // 000000007434: BF800000
	v_mfma_f32_16x16x16_f16 v[224:227], v[138:139], v[174:175], v[224:227]// 000000007438: D3CD00E0 07835D8A
	ds_write_b32 v15, v102 offset:6528                         // 000000007440: D81A1980 0000660F
	ds_write_b32 v15, v103 offset:7584                         // 000000007448: D81A1DA0 0000670F
	s_barrier                                                  // 000000007450: BF8A0000
	v_mfma_f32_16x16x16_f16 a[112:115], a[96:97], v[76:77], a[112:115]// 000000007454: D3CD8070 0DC29960
	buffer_atomic_add_f32 v156, v6, s[32:35], 0 idxen          // 00000000745C: E1342000 80089C06
	v_mfma_f32_16x16x16_f16 a[116:119], a[98:99], v[76:77], a[116:119]// 000000007464: D3CD8074 0DD29962
	ds_read_b32 v140, v23 offset:39424                         // 00000000746C: D86C9A00 8C000017
	ds_read_b32 v144, v23 offset:39488                         // 000000007474: D86C9A40 90000017
	ds_read_b32 v176, v23 offset:39680                         // 00000000747C: D86C9B00 B0000017
	ds_read_b32 v177, v23 offset:39744                         // 000000007484: D86C9B40 B1000017
	v_mfma_f32_16x16x16_f16 a[120:123], a[100:101], v[76:77], a[120:123]// 00000000748C: D3CD8078 0DE29964
	s_waitcnt lgkmcnt(8)                                       // 000000007494: BF8CC87F
	s_barrier                                                  // 000000007498: BF8A0000
	v_mfma_f32_16x16x16_f16 a[124:127], a[102:103], v[76:77], a[124:127]// 00000000749C: D3CD807C 0DF29966
	ds_read_b128 v[52:55], v19 offset:17408                    // 0000000074A4: D9FE4400 34000013
	v_mfma_f32_16x16x16_f16 a[128:131], a[96:97], v[78:79], a[128:131]// 0000000074AC: D3CD8080 0E029D60
	v_mfma_f32_16x16x16_f16 a[132:135], a[98:99], v[78:79], a[132:135]// 0000000074B4: D3CD8084 0E129D62
	ds_read_b128 v[56:59], v19 offset:18560                    // 0000000074BC: D9FE4880 38000013
	v_mfma_f32_16x16x16_f16 a[136:139], a[100:101], v[78:79], a[136:139]// 0000000074C4: D3CD8088 0E229D64
	buffer_atomic_add_f32 v157, v7, s[32:35], 0 idxen          // 0000000074CC: E1342000 80089D07
	v_mfma_f32_16x16x16_f16 a[140:143], a[102:103], v[78:79], a[140:143]// 0000000074D4: D3CD808C 0E329D66
	ds_read_b128 v[60:63], v19 offset:19712                    // 0000000074DC: D9FE4D00 3C000013
	v_mfma_f32_16x16x16_f16 a[144:147], a[96:97], v[80:81], a[144:147]// 0000000074E4: D3CD8090 0E42A160
	v_mfma_f32_16x16x16_f16 a[148:151], a[98:99], v[80:81], a[148:151]// 0000000074EC: D3CD8094 0E52A162
	ds_read_b128 v[64:67], v19 offset:20864                    // 0000000074F4: D9FE5180 40000013
	v_mfma_f32_16x16x16_f16 a[152:155], a[100:101], v[80:81], a[152:155]// 0000000074FC: D3CD8098 0E62A164
	v_mfma_f32_16x16x16_f16 a[156:159], a[102:103], v[80:81], a[156:159]// 000000007504: D3CD809C 0E72A166
	ds_read_b128 v[68:71], v19 offset:22016                    // 00000000750C: D9FE5600 44000013
	v_mfma_f32_16x16x16_f16 a[112:115], a[104:105], v[82:83], a[112:115]// 000000007514: D3CD8070 0DC2A568
	buffer_atomic_add_f32 v158, v6, s[32:35], 0 idxen offset:128// 00000000751C: E1342080 80089E06
	v_mfma_f32_16x16x16_f16 a[116:119], a[106:107], v[82:83], a[116:119]// 000000007524: D3CD8074 0DD2A56A
	ds_read_b128 v[72:75], v19 offset:23168                    // 00000000752C: D9FE5A80 48000013
	v_mfma_f32_16x16x16_f16 a[120:123], a[108:109], v[82:83], a[120:123]// 000000007534: D3CD8078 0DE2A56C
	v_mfma_f32_16x16x16_f16 a[124:127], a[110:111], v[82:83], a[124:127]// 00000000753C: D3CD807C 0DF2A56E
	ds_write_b32 v15, v104 offset:13056                        // 000000007544: D81A3300 0000680F
	v_mfma_f32_16x16x16_f16 a[128:131], a[104:105], v[84:85], a[128:131]// 00000000754C: D3CD8080 0E02A968
	v_mfma_f32_16x16x16_f16 a[132:135], a[106:107], v[84:85], a[132:135]// 000000007554: D3CD8084 0E12A96A
	ds_write_b32 v15, v105 offset:14112                        // 00000000755C: D81A3720 0000690F
	v_mfma_f32_16x16x16_f16 a[136:139], a[108:109], v[84:85], a[136:139]// 000000007564: D3CD8088 0E22A96C
	buffer_atomic_add_f32 v159, v7, s[32:35], 0 idxen offset:128// 00000000756C: E1342080 80089F07
	v_mfma_f32_16x16x16_f16 a[140:143], a[110:111], v[84:85], a[140:143]// 000000007574: D3CD808C 0E32A96E
	ds_write_b32 v15, v106 offset:15232                        // 00000000757C: D81A3B80 00006A0F
	v_mfma_f32_16x16x16_f16 a[144:147], a[104:105], v[86:87], a[144:147]// 000000007584: D3CD8090 0E42AD68
	v_mfma_f32_16x16x16_f16 a[148:151], a[106:107], v[86:87], a[148:151]// 00000000758C: D3CD8094 0E52AD6A
	ds_write_b32 v15, v107 offset:16288                        // 000000007594: D81A3FA0 00006B0F
	v_mfma_f32_16x16x16_f16 a[152:155], a[108:109], v[86:87], a[152:155]// 00000000759C: D3CD8098 0E62AD6C
	v_mfma_f32_16x16x16_f16 a[156:159], a[110:111], v[86:87], a[156:159]// 0000000075A4: D3CD809C 0E72AD6E
	s_waitcnt vmcnt(8) lgkmcnt(4)                              // 0000000075AC: BF8C0478
	s_barrier                                                  // 0000000075B0: BF8A0000
	v_mfma_f32_16x16x16_f16 v[148:151], v[52:53], a[24:25], 0  // 0000000075B4: D3CD0094 12023134
	v_mul_f32_e32 v140, s48, v140                              // 0000000075BC: 0B191830
	v_mul_f32_e32 v144, s48, v144                              // 0000000075C0: 0B212030
	s_nop 0                                                    // 0000000075C4: BF800000
	v_mfma_f32_16x16x16_f16 v[148:151], v[54:55], a[28:29], v[148:151]// 0000000075C8: D3CD0094 16523936
	ds_read_b128 a[96:99], v12                                 // 0000000075D0: DBFE0000 6000000C
	buffer_load_dword v36, v1, s[8:11], 0 idxen                // 0000000075D8: E0502000 80022401
	v_mfma_f32_16x16x16_f16 v[148:151], v[56:57], a[32:33], v[148:151]// 0000000075E0: D3CD0094 16524138
	v_mfma_f32_16x16x16_f16 v[148:151], v[58:59], a[36:37], v[148:151]// 0000000075E8: D3CD0094 1652493A
	ds_read_b128 a[100:103], v12 offset:512                    // 0000000075F0: DBFE0200 6400000C
	buffer_load_dword v37, v2, s[8:11], 0 idxen                // 0000000075F8: E0502000 80022502
	v_mfma_f32_16x16x16_f16 v[148:151], v[60:61], a[40:41], v[148:151]// 000000007600: D3CD0094 1652513C
	v_perm_b32 v100, v41, v40, s63                             // 000000007608: D1ED0064 00FE5129
	v_perm_b32 v101, v41, v40, s64                             // 000000007610: D1ED0065 01025129
	v_mfma_f32_16x16x16_f16 v[148:151], v[62:63], a[44:45], v[148:151]// 000000007618: D3CD0094 1652593E
	ds_read_b128 a[104:107], v12 offset:2176                   // 000000007620: DBFE0880 6800000C
	buffer_load_dword v38, v3, s[8:11], 0 idxen                // 000000007628: E0502000 80022603
	v_mfma_f32_16x16x16_f16 v[148:151], v[64:65], a[48:49], v[148:151]// 000000007630: D3CD0094 16526140
	v_perm_b32 v102, v43, v42, s63                             // 000000007638: D1ED0066 00FE552B
	v_perm_b32 v103, v43, v42, s64                             // 000000007640: D1ED0067 0102552B
	v_mfma_f32_16x16x16_f16 v[148:151], v[66:67], a[52:53], v[148:151]// 000000007648: D3CD0094 16526942
	ds_read_b128 a[108:111], v12 offset:2688                   // 000000007650: DBFE0A80 6C00000C
	buffer_load_dword v39, v4, s[8:11], 0 idxen                // 000000007658: E0502000 80022704
	v_mfma_f32_16x16x16_f16 v[148:151], v[68:69], a[56:57], v[148:151]// 000000007660: D3CD0094 16527144
	v_perm_b32 v104, v49, v48, s63                             // 000000007668: D1ED0068 00FE6131
	v_perm_b32 v105, v49, v48, s64                             // 000000007670: D1ED0069 01026131
	v_mfma_f32_16x16x16_f16 v[148:151], v[70:71], a[60:61], v[148:151]// 000000007678: D3CD0094 16527946
	ds_read_b128 v[108:111], v12 offset:8704                   // 000000007680: D9FE2200 6C00000C
	buffer_load_dword v44, v228, s[20:23], 0 idxen             // 000000007688: E0502000 80052CE4
	v_mfma_f32_16x16x16_f16 v[148:151], v[72:73], a[64:65], v[148:151]// 000000007690: D3CD0094 16528148
	v_perm_b32 v106, v51, v50, s63                             // 000000007698: D1ED006A 00FE6533
	v_perm_b32 v107, v51, v50, s64                             // 0000000076A0: D1ED006B 01026533
	v_mfma_f32_16x16x16_f16 v[148:151], v[74:75], a[68:69], v[148:151]// 0000000076A8: D3CD0094 1652894A
	ds_read_b128 v[112:115], v12 offset:9216                   // 0000000076B0: D9FE2400 7000000C
	buffer_load_dword v45, v229, s[20:23], 0 idxen             // 0000000076B8: E0502000 80052DE5
	v_mfma_f32_16x16x16_f16 v[152:155], v[52:53], a[26:27], 0  // 0000000076C0: D3CD0098 12023534
	v_mov_b32_dpp v143, v140 quad_perm:[3,3,3,3] row_mask:0xf bank_mask:0xf// 0000000076C8: 7F1E02FA FF00FF8C
	v_mov_b32_dpp v142, v140 quad_perm:[2,2,2,2] row_mask:0xf bank_mask:0xf// 0000000076D0: 7F1C02FA FF00AA8C
	v_mov_b32_dpp v141, v140 quad_perm:[1,1,1,1] row_mask:0xf bank_mask:0xf// 0000000076D8: 7F1A02FA FF00558C
	v_mov_b32_dpp v140, v140 quad_perm:[0,0,0,0] row_mask:0xf bank_mask:0xf// 0000000076E0: 7F1802FA FF00008C
	v_mfma_f32_16x16x16_f16 v[152:155], v[54:55], a[30:31], v[152:155]// 0000000076E8: D3CD0098 16623D36
	ds_read_b128 v[116:119], v12 offset:10880                  // 0000000076F0: D9FE2A80 7400000C
	buffer_load_dword v46, v230, s[20:23], 0 idxen             // 0000000076F8: E0502000 80052EE6
	v_mfma_f32_16x16x16_f16 v[152:155], v[56:57], a[34:35], v[152:155]// 000000007700: D3CD0098 16624538
	v_mov_b32_dpp v147, v144 quad_perm:[3,3,3,3] row_mask:0xf bank_mask:0xf// 000000007708: 7F2602FA FF00FF90
	v_mov_b32_dpp v146, v144 quad_perm:[2,2,2,2] row_mask:0xf bank_mask:0xf// 000000007710: 7F2402FA FF00AA90
	v_mov_b32_dpp v145, v144 quad_perm:[1,1,1,1] row_mask:0xf bank_mask:0xf// 000000007718: 7F2202FA FF005590
	v_mov_b32_dpp v144, v144 quad_perm:[0,0,0,0] row_mask:0xf bank_mask:0xf// 000000007720: 7F2002FA FF000090
	s_add_u32 s60, 0x80, s59                                   // 000000007728: 803C3BFF 00000080
	v_mfma_f32_16x16x16_f16 v[152:155], v[58:59], a[38:39], v[152:155]// 000000007730: D3CD0098 16624D3A
	ds_read_b128 v[120:123], v12 offset:11392                  // 000000007738: D9FE2C80 7800000C
	buffer_load_dword v47, v231, s[20:23], 0 idxen             // 000000007740: E0502000 80052FE7
	v_mfma_f32_16x16x16_f16 v[152:155], v[60:61], a[42:43], v[152:155]// 000000007748: D3CD0098 1662553C
	s_cmp_lt_u32 s60, s58                                      // 000000007750: BF0A3A3C
	s_cselect_b32 s68, s68, 0                                  // 000000007754: 85448044
	s_cselect_b32 s100, s100, 0                                // 000000007758: 85648064
	s_cselect_b32 s69, s69, 0                                  // 00000000775C: 85458045
	v_mfma_f32_16x16x16_f16 v[152:155], v[62:63], a[46:47], v[152:155]// 000000007760: D3CD0098 16625D3E
	buffer_load_dword v11, s[24:27], 0 idxen lds               // 000000007768: E0512000 8006000B
	v_mfma_f32_16x16x16_f16 v[152:155], v[64:65], a[50:51], v[152:155]// 000000007770: D3CD0098 16626540
	v_add_u32_e32 v1, s68, v1                                  // 000000007778: 68020244
	v_add_u32_e32 v2, s68, v2                                  // 00000000777C: 68040444
	v_add_u32_e32 v3, s68, v3                                  // 000000007780: 68060644
	v_add_u32_e32 v4, s68, v4                                  // 000000007784: 68080844
	v_mfma_f32_16x16x16_f16 v[152:155], v[66:67], a[54:55], v[152:155]// 000000007788: D3CD0098 16626D42
	v_add_u32_e32 v228, s100, v228                             // 000000007790: 69C9C864
	v_add_u32_e32 v229, s100, v229                             // 000000007794: 69CBCA64
	v_add_u32_e32 v230, s100, v230                             // 000000007798: 69CDCC64
	v_add_u32_e32 v231, s100, v231                             // 00000000779C: 69CFCE64
	v_mfma_f32_16x16x16_f16 v[152:155], v[68:69], a[58:59], v[152:155]// 0000000077A0: D3CD0098 16627544
	s_mov_b32 m0, s79                                          // 0000000077A8: BEFC004F
	v_add_u32_e32 v11, s69, v11                                // 0000000077AC: 68161645
	v_mfma_f32_16x16x16_f16 v[152:155], v[70:71], a[62:63], v[152:155]// 0000000077B0: D3CD0098 16627D46
	s_cmp_ge_u32 s59, s73                                      // 0000000077B8: BF09493B
	s_cselect_b32 s66, s67, s66                                // 0000000077BC: 85424243
	v_mfma_f32_16x16x16_f16 v[152:155], v[72:73], a[66:67], v[152:155]// 0000000077C0: D3CD0098 16628548
	s_addk_i32 s59, 0x20                                       // 0000000077C8: B73B0020
	s_nop 0                                                    // 0000000077CC: BF800000
	s_cmp_lt_i32 s59, s58                                      // 0000000077D0: BF043A3B
	v_mfma_f32_16x16x16_f16 v[152:155], v[74:75], a[70:71], v[152:155]// 0000000077D4: D3CD0098 16628D4A
	s_cbranch_scc0 label_0E0B                                  // 0000000077DC: BF840001
	s_branch label_0670                                        // 0000000077E0: BF82F877

00000000000077e4 <label_0E0B>:
	s_nop 0                                                    // 0000000077E4: BF800000
	s_nop 0                                                    // 0000000077E8: BF800000
	s_branch label_15A9                                        // 0000000077EC: BF820789

00000000000077f0 <label_0E0E>:
	s_waitcnt lgkmcnt(4)                                       // 0000000077F0: BF8CC47F
	s_barrier                                                  // 0000000077F4: BF8A0000
	v_mfma_f32_16x16x16_f16 v[52:55], a[96:97], a[0:1], 0      // 0000000077F8: D3CD0034 1A020160
	v_mul_f32_e32 v148, s47, v148                              // 000000007800: 0B29282F
	v_mul_f32_e32 v149, s47, v149                              // 000000007804: 0B2B2A2F
	v_mfma_f32_16x16x16_f16 v[52:55], a[98:99], a[2:3], v[52:55]// 000000007808: D3CD0034 1CD20562
	ds_write_b32 v13, v48 offset:8704                          // 000000007810: D81A2200 0000300D
	ds_write_b32 v13, v49 offset:9760                          // 000000007818: D81A2620 0000310D
	v_mfma_f32_16x16x16_f16 v[52:55], a[100:101], a[4:5], v[52:55]// 000000007820: D3CD0034 1CD20964
	v_mul_f32_e32 v150, s47, v150                              // 000000007828: 0B2D2C2F
	v_mul_f32_e32 v151, s47, v151                              // 00000000782C: 0B2F2E2F
	v_mfma_f32_16x16x16_f16 v[52:55], a[102:103], a[6:7], v[52:55]// 000000007830: D3CD0034 1CD20D66
	ds_write_b32 v13, v50 offset:10880                         // 000000007838: D81A2A80 0000320D
	ds_write_b32 v13, v51 offset:11936                         // 000000007840: D81A2EA0 0000330D
	v_mfma_f32_16x16x16_f16 v[56:59], a[96:97], a[8:9], 0      // 000000007848: D3CD0038 1A021160
	v_mul_f32_e32 v152, s47, v152                              // 000000007850: 0B31302F
	v_mul_f32_e32 v153, s47, v153                              // 000000007854: 0B33322F
	v_mfma_f32_16x16x16_f16 v[56:59], a[98:99], a[10:11], v[56:59]// 000000007858: D3CD0038 1CE21562
	ds_write_b64 v22, v[148:149] offset:31232                  // 000000007860: D89A7A00 00009416
	v_mfma_f32_16x16x16_f16 v[56:59], a[100:101], a[12:13], v[56:59]// 000000007868: D3CD0038 1CE21964
	v_mul_f32_e32 v154, s47, v154                              // 000000007870: 0B35342F
	v_mul_f32_e32 v155, s47, v155                              // 000000007874: 0B37362F
	v_mfma_f32_16x16x16_f16 v[56:59], a[102:103], a[14:15], v[56:59]// 000000007878: D3CD0038 1CE21D66
	ds_write_b64 v22, v[150:151] offset:31744                  // 000000007880: D89A7C00 00009616
	v_mfma_f32_16x16x16_f16 v[60:63], a[96:97], a[16:17], 0    // 000000007888: D3CD003C 1A022160
	buffer_atomic_add_f32 v160, v8, s[32:35], 0 idxen          // 000000007890: E1342000 8008A008
	v_mfma_f32_16x16x16_f16 v[60:63], a[98:99], a[18:19], v[60:63]// 000000007898: D3CD003C 1CF22562
	ds_write_b64 v22, v[152:153] offset:32256                  // 0000000078A0: D89A7E00 00009816
	v_mfma_f32_16x16x16_f16 v[60:63], a[100:101], a[20:21], v[60:63]// 0000000078A8: D3CD003C 1CF22964
	v_mfma_f32_16x16x16_f16 v[60:63], a[102:103], a[22:23], v[60:63]// 0000000078B0: D3CD003C 1CF22D66
	ds_write_b64 v22, v[154:155] offset:32768                  // 0000000078B8: D89A8000 00009A16
	v_mfma_f32_16x16x16_f16 v[64:67], a[104:105], a[0:1], 0    // 0000000078C0: D3CD0040 1A020168
	buffer_atomic_add_f32 v161, v9, s[32:35], 0 idxen          // 0000000078C8: E1342000 8008A109
	v_mfma_f32_16x16x16_f16 v[64:67], a[106:107], a[2:3], v[64:67]// 0000000078D0: D3CD0040 1D02056A
	ds_read_b128 v[124:127], v14 offset:13056                  // 0000000078D8: D9FE3300 7C00000E
	ds_write_b32 v13, v40                                      // 0000000078E0: D81A0000 0000280D
	v_mfma_f32_16x16x16_f16 v[64:67], a[108:109], a[4:5], v[64:67]// 0000000078E8: D3CD0040 1D02096C
	v_mfma_f32_16x16x16_f16 v[64:67], a[110:111], a[6:7], v[64:67]// 0000000078F0: D3CD0040 1D020D6E
	v_mfma_f32_16x16x16_f16 v[68:71], a[104:105], a[8:9], 0    // 0000000078F8: D3CD0044 1A021168
	ds_read_b128 v[128:131], v14 offset:13568                  // 000000007900: D9FE3500 8000000E
	ds_write_b32 v13, v41 offset:1056                          // 000000007908: D81A0420 0000290D
	v_mfma_f32_16x16x16_f16 v[68:71], a[106:107], a[10:11], v[68:71]// 000000007910: D3CD0044 1D12156A
	buffer_atomic_add_f32 v162, v8, s[32:35], 0 idxen offset:128// 000000007918: E1342080 8008A208
	v_mfma_f32_16x16x16_f16 v[68:71], a[108:109], a[12:13], v[68:71]// 000000007920: D3CD0044 1D12196C
	v_mfma_f32_16x16x16_f16 v[68:71], a[110:111], a[14:15], v[68:71]// 000000007928: D3CD0044 1D121D6E
	ds_read_b128 v[132:135], v14 offset:15232                  // 000000007930: D9FE3B80 8400000E
	ds_write_b32 v13, v42 offset:2176                          // 000000007938: D81A0880 00002A0D
	v_mfma_f32_16x16x16_f16 v[72:75], a[104:105], a[16:17], 0  // 000000007940: D3CD0048 1A022168
	v_mfma_f32_16x16x16_f16 v[72:75], a[106:107], a[18:19], v[72:75]// 000000007948: D3CD0048 1D22256A
	buffer_atomic_add_f32 v163, v9, s[32:35], 0 idxen offset:128// 000000007950: E1342080 8008A309
	v_mfma_f32_16x16x16_f16 v[72:75], a[108:109], a[20:21], v[72:75]// 000000007958: D3CD0048 1D22296C
	ds_read_b128 v[136:139], v14 offset:15744                  // 000000007960: D9FE3D80 8800000E
	ds_write_b32 v13, v43 offset:3232                          // 000000007968: D81A0CA0 00002B0D
	v_mfma_f32_16x16x16_f16 v[72:75], a[110:111], a[22:23], v[72:75]// 000000007970: D3CD0048 1D222D6E
	s_cmp_eq_i32 s80, 0                                        // 000000007978: BF008050
	s_cbranch_scc1 label_0F6B                                  // 00000000797C: BF8500F0
	s_cmp_lt_i32 s74, 6                                        // 000000007980: BF04864A
	s_cbranch_scc0 label_0EF2                                  // 000000007984: BF84007E
	s_lshl_b32 s60, s74, 5                                     // 000000007988: 8E3C854A
	s_lshl_b32 s61, 0, 4                                       // 00000000798C: 8E3D8480
	s_add_i32 s60, s60, s61                                    // 000000007990: 813C3D3C
	v_sub_i32 v32, v232, s60                                   // 000000007994: D29D0020 000079E8
	s_mov_b32 s61, 0                                           // 00000000799C: BEBD0080
	v_add_i32 v33, v32, s61                                    // 0000000079A0: D29C0021 00007B20
	v_cmp_gt_i32_e64 s[70:71], v33, 0                          // 0000000079A8: D0C40046 00010121
	v_cmp_gt_i32_e64 s[82:83], v33, 1                          // 0000000079B0: D0C40052 00010321
	v_cndmask_b32_e64 v52, v52, v178, s[70:71]                 // 0000000079B8: D1000034 011B6534
	v_cndmask_b32_e64 v53, v53, v178, s[82:83]                 // 0000000079C0: D1000035 014B6535
	v_cmp_gt_i32_e64 s[70:71], v33, 2                          // 0000000079C8: D0C40046 00010521
	v_cmp_gt_i32_e64 s[82:83], v33, 3                          // 0000000079D0: D0C40052 00010721
	v_cndmask_b32_e64 v54, v54, v178, s[70:71]                 // 0000000079D8: D1000036 011B6536
	v_cndmask_b32_e64 v55, v55, v178, s[82:83]                 // 0000000079E0: D1000037 014B6537
	s_mov_b32 s61, 64                                          // 0000000079E8: BEBD00C0
	v_add_i32 v33, v32, s61                                    // 0000000079EC: D29C0021 00007B20
	v_cmp_gt_i32_e64 s[70:71], v33, 0                          // 0000000079F4: D0C40046 00010121
	v_cmp_gt_i32_e64 s[82:83], v33, 1                          // 0000000079FC: D0C40052 00010321
	v_cndmask_b32_e64 v56, v56, v178, s[70:71]                 // 000000007A04: D1000038 011B6538
	v_cndmask_b32_e64 v57, v57, v178, s[82:83]                 // 000000007A0C: D1000039 014B6539
	v_cmp_gt_i32_e64 s[70:71], v33, 2                          // 000000007A14: D0C40046 00010521
	v_cmp_gt_i32_e64 s[82:83], v33, 3                          // 000000007A1C: D0C40052 00010721
	v_cndmask_b32_e64 v58, v58, v178, s[70:71]                 // 000000007A24: D100003A 011B653A
	v_cndmask_b32_e64 v59, v59, v178, s[82:83]                 // 000000007A2C: D100003B 014B653B
	s_mov_b32 s61, 0x80                                        // 000000007A34: BEBD00FF 00000080
	v_add_i32 v33, v32, s61                                    // 000000007A3C: D29C0021 00007B20
	v_cmp_gt_i32_e64 s[70:71], v33, 0                          // 000000007A44: D0C40046 00010121
	v_cmp_gt_i32_e64 s[82:83], v33, 1                          // 000000007A4C: D0C40052 00010321
	v_cndmask_b32_e64 v60, v60, v178, s[70:71]                 // 000000007A54: D100003C 011B653C
	v_cndmask_b32_e64 v61, v61, v178, s[82:83]                 // 000000007A5C: D100003D 014B653D
	v_cmp_gt_i32_e64 s[70:71], v33, 2                          // 000000007A64: D0C40046 00010521
	v_cmp_gt_i32_e64 s[82:83], v33, 3                          // 000000007A6C: D0C40052 00010721
	v_cndmask_b32_e64 v62, v62, v178, s[70:71]                 // 000000007A74: D100003E 011B653E
	v_cndmask_b32_e64 v63, v63, v178, s[82:83]                 // 000000007A7C: D100003F 014B653F
	s_lshl_b32 s60, s74, 5                                     // 000000007A84: 8E3C854A
	s_lshl_b32 s61, 1, 4                                       // 000000007A88: 8E3D8481
	s_add_i32 s60, s60, s61                                    // 000000007A8C: 813C3D3C
	v_sub_i32 v32, v232, s60                                   // 000000007A90: D29D0020 000079E8
	s_mov_b32 s61, 0                                           // 000000007A98: BEBD0080
	v_add_i32 v33, v32, s61                                    // 000000007A9C: D29C0021 00007B20
	v_cmp_gt_i32_e64 s[70:71], v33, 0                          // 000000007AA4: D0C40046 00010121
	v_cmp_gt_i32_e64 s[82:83], v33, 1                          // 000000007AAC: D0C40052 00010321
	v_cndmask_b32_e64 v64, v64, v178, s[70:71]                 // 000000007AB4: D1000040 011B6540
	v_cndmask_b32_e64 v65, v65, v178, s[82:83]                 // 000000007ABC: D1000041 014B6541
	v_cmp_gt_i32_e64 s[70:71], v33, 2                          // 000000007AC4: D0C40046 00010521
	v_cmp_gt_i32_e64 s[82:83], v33, 3                          // 000000007ACC: D0C40052 00010721
	v_cndmask_b32_e64 v66, v66, v178, s[70:71]                 // 000000007AD4: D1000042 011B6542
	v_cndmask_b32_e64 v67, v67, v178, s[82:83]                 // 000000007ADC: D1000043 014B6543
	s_mov_b32 s61, 64                                          // 000000007AE4: BEBD00C0
	v_add_i32 v33, v32, s61                                    // 000000007AE8: D29C0021 00007B20
	v_cmp_gt_i32_e64 s[70:71], v33, 0                          // 000000007AF0: D0C40046 00010121
	v_cmp_gt_i32_e64 s[82:83], v33, 1                          // 000000007AF8: D0C40052 00010321
	v_cndmask_b32_e64 v68, v68, v178, s[70:71]                 // 000000007B00: D1000044 011B6544
	v_cndmask_b32_e64 v69, v69, v178, s[82:83]                 // 000000007B08: D1000045 014B6545
	v_cmp_gt_i32_e64 s[70:71], v33, 2                          // 000000007B10: D0C40046 00010521
	v_cmp_gt_i32_e64 s[82:83], v33, 3                          // 000000007B18: D0C40052 00010721
	v_cndmask_b32_e64 v70, v70, v178, s[70:71]                 // 000000007B20: D1000046 011B6546
	v_cndmask_b32_e64 v71, v71, v178, s[82:83]                 // 000000007B28: D1000047 014B6547
	s_mov_b32 s61, 0x80                                        // 000000007B30: BEBD00FF 00000080
	v_add_i32 v33, v32, s61                                    // 000000007B38: D29C0021 00007B20
	v_cmp_gt_i32_e64 s[70:71], v33, 0                          // 000000007B40: D0C40046 00010121
	v_cmp_gt_i32_e64 s[82:83], v33, 1                          // 000000007B48: D0C40052 00010321
	v_cndmask_b32_e64 v72, v72, v178, s[70:71]                 // 000000007B50: D1000048 011B6548
	v_cndmask_b32_e64 v73, v73, v178, s[82:83]                 // 000000007B58: D1000049 014B6549
	v_cmp_gt_i32_e64 s[70:71], v33, 2                          // 000000007B60: D0C40046 00010521
	v_cmp_gt_i32_e64 s[82:83], v33, 3                          // 000000007B68: D0C40052 00010721
	v_cndmask_b32_e64 v74, v74, v178, s[70:71]                 // 000000007B70: D100004A 011B654A
	v_cndmask_b32_e64 v75, v75, v178, s[82:83]                 // 000000007B78: D100004B 014B654B

0000000000007b80 <label_0EF2>:
	s_cmp_lt_i32 s84, 0xc0                                     // 000000007B80: BF04FF54 000000C0
	s_cbranch_scc0 label_0F6B                                  // 000000007B88: BF84006D
	s_cmp_le_i32 s84, 64                                       // 000000007B8C: BF05C054
	s_cbranch_scc1 label_0EFE                                  // 000000007B90: BF850007
	s_cmp_le_i32 s84, 0x80                                     // 000000007B94: BF05FF54 00000080
	s_cbranch_scc1 label_0F22                                  // 000000007B9C: BF85001F
	s_cmp_lt_i32 s84, 0xc0                                     // 000000007BA0: BF04FF54 000000C0
	s_cbranch_scc1 label_0F46                                  // 000000007BA8: BF850040
	s_branch label_0F6B                                        // 000000007BAC: BF820064

0000000000007bb0 <label_0EFE>:
	s_mov_b32 s60, 0                                           // 000000007BB0: BEBC0080
	v_and_b32_e32 v32, 15, v0                                  // 000000007BB4: 2640008F
	v_add_u32_e64 v32, v32, s60                                // 000000007BB8: D1340020 00007920
	v_mul_i32_i24_e64 v33, s46, 16                             // 000000007BC0: D1060021 0001202E
	v_add_u32_e32 v32, v32, v33                                // 000000007BC8: 68404320
	v_cmp_lt_u32_e64 s[60:61], v32, s84                        // 000000007BCC: D0C9003C 0000A920
	s_nop 1                                                    // 000000007BD4: BF800001
	v_cndmask_b32_e64 v52, v178, v52, s[60:61]                 // 000000007BD8: D1000034 00F269B2
	v_cndmask_b32_e64 v64, v178, v64, s[60:61]                 // 000000007BE0: D1000040 00F281B2
	v_cndmask_b32_e64 v53, v178, v53, s[60:61]                 // 000000007BE8: D1000035 00F26BB2
	v_cndmask_b32_e64 v65, v178, v65, s[60:61]                 // 000000007BF0: D1000041 00F283B2
	v_cndmask_b32_e64 v54, v178, v54, s[60:61]                 // 000000007BF8: D1000036 00F26DB2
	v_cndmask_b32_e64 v66, v178, v66, s[60:61]                 // 000000007C00: D1000042 00F285B2
	v_cndmask_b32_e64 v55, v178, v55, s[60:61]                 // 000000007C08: D1000037 00F26FB2
	v_cndmask_b32_e64 v67, v178, v67, s[60:61]                 // 000000007C10: D1000043 00F287B2
	s_branch label_0F3D                                        // 000000007C18: BF82001B

0000000000007c1c <label_0F22>:
	s_mov_b32 s60, 64                                          // 000000007C1C: BEBC00C0
	v_and_b32_e32 v32, 15, v0                                  // 000000007C20: 2640008F
	v_add_u32_e64 v32, v32, s60                                // 000000007C24: D1340020 00007920
	v_mul_i32_i24_e64 v33, s46, 16                             // 000000007C2C: D1060021 0001202E
	v_add_u32_e32 v32, v32, v33                                // 000000007C34: 68404320
	v_cmp_lt_u32_e64 s[60:61], v32, s84                        // 000000007C38: D0C9003C 0000A920
	s_nop 1                                                    // 000000007C40: BF800001
	v_cndmask_b32_e64 v56, v178, v56, s[60:61]                 // 000000007C44: D1000038 00F271B2
	v_cndmask_b32_e64 v68, v178, v68, s[60:61]                 // 000000007C4C: D1000044 00F289B2
	v_cndmask_b32_e64 v57, v178, v57, s[60:61]                 // 000000007C54: D1000039 00F273B2
	v_cndmask_b32_e64 v69, v178, v69, s[60:61]                 // 000000007C5C: D1000045 00F28BB2
	v_cndmask_b32_e64 v58, v178, v58, s[60:61]                 // 000000007C64: D100003A 00F275B2
	v_cndmask_b32_e64 v70, v178, v70, s[60:61]                 // 000000007C6C: D1000046 00F28DB2
	v_cndmask_b32_e64 v59, v178, v59, s[60:61]                 // 000000007C74: D100003B 00F277B2
	v_cndmask_b32_e64 v71, v178, v71, s[60:61]                 // 000000007C7C: D1000047 00F28FB2
	s_branch label_0F62                                        // 000000007C84: BF820025

0000000000007c88 <label_0F3D>:
	v_mov_b32_e32 v56, v178                                    // 000000007C88: 7E7003B2
	v_mov_b32_e32 v68, v178                                    // 000000007C8C: 7E8803B2
	v_mov_b32_e32 v57, v178                                    // 000000007C90: 7E7203B2
	v_mov_b32_e32 v69, v178                                    // 000000007C94: 7E8A03B2
	v_mov_b32_e32 v58, v178                                    // 000000007C98: 7E7403B2
	v_mov_b32_e32 v70, v178                                    // 000000007C9C: 7E8C03B2
	v_mov_b32_e32 v59, v178                                    // 000000007CA0: 7E7603B2
	v_mov_b32_e32 v71, v178                                    // 000000007CA4: 7E8E03B2
	s_branch label_0F62                                        // 000000007CA8: BF82001C

0000000000007cac <label_0F46>:
	s_mov_b32 s60, 0x80                                        // 000000007CAC: BEBC00FF 00000080
	v_and_b32_e32 v32, 15, v0                                  // 000000007CB4: 2640008F
	v_add_u32_e64 v32, v32, s60                                // 000000007CB8: D1340020 00007920
	v_mul_i32_i24_e64 v33, s46, 16                             // 000000007CC0: D1060021 0001202E
	v_add_u32_e32 v32, v32, v33                                // 000000007CC8: 68404320
	v_cmp_lt_u32_e64 s[60:61], v32, s84                        // 000000007CCC: D0C9003C 0000A920
	s_nop 1                                                    // 000000007CD4: BF800001
	v_cndmask_b32_e64 v60, v178, v60, s[60:61]                 // 000000007CD8: D100003C 00F279B2
	v_cndmask_b32_e64 v72, v178, v72, s[60:61]                 // 000000007CE0: D1000048 00F291B2
	v_cndmask_b32_e64 v61, v178, v61, s[60:61]                 // 000000007CE8: D100003D 00F27BB2
	v_cndmask_b32_e64 v73, v178, v73, s[60:61]                 // 000000007CF0: D1000049 00F293B2
	v_cndmask_b32_e64 v62, v178, v62, s[60:61]                 // 000000007CF8: D100003E 00F27DB2
	v_cndmask_b32_e64 v74, v178, v74, s[60:61]                 // 000000007D00: D100004A 00F295B2
	v_cndmask_b32_e64 v63, v178, v63, s[60:61]                 // 000000007D08: D100003F 00F27FB2
	v_cndmask_b32_e64 v75, v178, v75, s[60:61]                 // 000000007D10: D100004B 00F297B2
	s_branch label_0F6B                                        // 000000007D18: BF820009

0000000000007d1c <label_0F62>:
	v_mov_b32_e32 v60, v178                                    // 000000007D1C: 7E7803B2
	v_mov_b32_e32 v72, v178                                    // 000000007D20: 7E9003B2
	v_mov_b32_e32 v61, v178                                    // 000000007D24: 7E7A03B2
	v_mov_b32_e32 v73, v178                                    // 000000007D28: 7E9203B2
	v_mov_b32_e32 v62, v178                                    // 000000007D2C: 7E7C03B2
	v_mov_b32_e32 v74, v178                                    // 000000007D30: 7E9403B2
	v_mov_b32_e32 v63, v178                                    // 000000007D34: 7E7E03B2
	v_mov_b32_e32 v75, v178                                    // 000000007D38: 7E9603B2
	s_branch label_0F6B                                        // 000000007D3C: BF820000

0000000000007d40 <label_0F6B>:
	s_addk_i32 s74, 0x1                                        // 000000007D40: B74A0001
	s_waitcnt lgkmcnt(8)                                       // 000000007D44: BF8CC87F
	s_barrier                                                  // 000000007D48: BF8A0000
	v_mfma_f32_16x16x16_f16 v[76:79], v[108:109], a[72:73], 0  // 000000007D4C: D3CD004C 1202916C
	v_fma_f32 v52, v52, s57, -v140                             // 000000007D54: D1CB0034 86307334
	v_fma_f32 v53, v53, s57, -v141                             // 000000007D5C: D1CB0035 86347335
	v_fma_f32 v54, v54, s57, -v142                             // 000000007D64: D1CB0036 86387336
	v_fma_f32 v55, v55, s57, -v143                             // 000000007D6C: D1CB0037 863C7337
	v_fma_f32 v56, v56, s57, -v140                             // 000000007D74: D1CB0038 86307338
	v_fma_f32 v57, v57, s57, -v141                             // 000000007D7C: D1CB0039 86347339
	v_mfma_f32_16x16x16_f16 v[76:79], v[110:111], a[74:75], v[76:79]// 000000007D84: D3CD004C 1532956E
	ds_read_b128 a[96:99], v14 offset:4352                     // 000000007D8C: DBFE1100 6000000E
	ds_read_b128 a[100:103], v14 offset:4864                   // 000000007D94: DBFE1300 6400000E
	v_mfma_f32_16x16x16_f16 v[76:79], v[112:113], a[76:77], v[76:79]// 000000007D9C: D3CD004C 15329970
	v_fma_f32 v58, v58, s57, -v142                             // 000000007DA4: D1CB003A 8638733A
	v_fma_f32 v59, v59, s57, -v143                             // 000000007DAC: D1CB003B 863C733B
	v_fma_f32 v60, v60, s57, -v140                             // 000000007DB4: D1CB003C 8630733C
	v_fma_f32 v61, v61, s57, -v141                             // 000000007DBC: D1CB003D 8634733D
	v_fma_f32 v62, v62, s57, -v142                             // 000000007DC4: D1CB003E 8638733E
	v_fma_f32 v63, v63, s57, -v143                             // 000000007DCC: D1CB003F 863C733F
	v_mfma_f32_16x16x16_f16 v[76:79], v[114:115], a[78:79], v[76:79]// 000000007DD4: D3CD004C 15329D72
	v_fma_f32 v64, v64, s57, -v144                             // 000000007DDC: D1CB0040 86407340
	v_fma_f32 v65, v65, s57, -v145                             // 000000007DE4: D1CB0041 86447341
	v_fma_f32 v66, v66, s57, -v146                             // 000000007DEC: D1CB0042 86487342
	v_fma_f32 v67, v67, s57, -v147                             // 000000007DF4: D1CB0043 864C7343
	v_fma_f32 v68, v68, s57, -v144                             // 000000007DFC: D1CB0044 86407344
	v_fma_f32 v69, v69, s57, -v145                             // 000000007E04: D1CB0045 86447345
	v_mfma_f32_16x16x16_f16 v[80:83], v[108:109], a[80:81], 0  // 000000007E0C: D3CD0050 1202A16C
	v_fma_f32 v70, v70, s57, -v146                             // 000000007E14: D1CB0046 86487346
	v_fma_f32 v71, v71, s57, -v147                             // 000000007E1C: D1CB0047 864C7347
	v_fma_f32 v72, v72, s57, -v144                             // 000000007E24: D1CB0048 86407348
	v_fma_f32 v73, v73, s57, -v145                             // 000000007E2C: D1CB0049 86447349
	v_fma_f32 v74, v74, s57, -v146                             // 000000007E34: D1CB004A 8648734A
	v_fma_f32 v75, v75, s57, -v147                             // 000000007E3C: D1CB004B 864C734B
	v_mfma_f32_16x16x16_f16 v[80:83], v[110:111], a[82:83], v[80:83]// 000000007E44: D3CD0050 1542A56E
	ds_read_b128 a[104:107], v14 offset:6528                   // 000000007E4C: DBFE1980 6800000E
	ds_read_b128 a[108:111], v14 offset:7040                   // 000000007E54: DBFE1B80 6C00000E
	v_mfma_f32_16x16x16_f16 v[80:83], v[112:113], a[84:85], v[80:83]// 000000007E5C: D3CD0050 1542A970
	v_exp_f32_e32 v52, v52                                     // 000000007E64: 7E684134
	v_exp_f32_e32 v53, v53                                     // 000000007E68: 7E6A4135
	v_mfma_f32_16x16x16_f16 v[80:83], v[114:115], a[86:87], v[80:83]// 000000007E6C: D3CD0050 1542AD72
	v_exp_f32_e32 v54, v54                                     // 000000007E74: 7E6C4136
	v_exp_f32_e32 v55, v55                                     // 000000007E78: 7E6E4137
	v_mfma_f32_16x16x16_f16 v[84:87], v[108:109], a[88:89], 0  // 000000007E7C: D3CD0054 1202B16C
	v_exp_f32_e32 v56, v56                                     // 000000007E84: 7E704138
	v_exp_f32_e32 v57, v57                                     // 000000007E88: 7E724139
	v_mfma_f32_16x16x16_f16 v[84:87], v[110:111], a[90:91], v[84:87]// 000000007E8C: D3CD0054 1552B56E
	ds_read_b64 v[156:157], v21 offset:31232                   // 000000007E94: D8EC7A00 9C000015
	ds_read_b64 v[158:159], v21 offset:33280                   // 000000007E9C: D8EC8200 9E000015
	v_mfma_f32_16x16x16_f16 v[84:87], v[112:113], a[92:93], v[84:87]// 000000007EA4: D3CD0054 1552B970
	v_exp_f32_e32 v58, v58                                     // 000000007EAC: 7E74413A
	v_exp_f32_e32 v59, v59                                     // 000000007EB0: 7E76413B
	v_mfma_f32_16x16x16_f16 v[84:87], v[114:115], a[94:95], v[84:87]// 000000007EB4: D3CD0054 1552BD72
	ds_read_b64 v[160:161], v21 offset:35328                   // 000000007EBC: D8EC8A00 A0000015
	ds_read_b64 v[162:163], v21 offset:37376                   // 000000007EC4: D8EC9200 A2000015
	v_mfma_f32_16x16x16_f16 v[88:91], v[116:117], a[72:73], 0  // 000000007ECC: D3CD0058 12029174
	v_exp_f32_e32 v60, v60                                     // 000000007ED4: 7E78413C
	v_exp_f32_e32 v61, v61                                     // 000000007ED8: 7E7A413D
	v_mfma_f32_16x16x16_f16 v[88:91], v[118:119], a[74:75], v[88:91]// 000000007EDC: D3CD0058 15629576
	v_exp_f32_e32 v62, v62                                     // 000000007EE4: 7E7C413E
	v_exp_f32_e32 v63, v63                                     // 000000007EE8: 7E7E413F
	v_mfma_f32_16x16x16_f16 v[88:91], v[120:121], a[76:77], v[88:91]// 000000007EEC: D3CD0058 15629978
	v_exp_f32_e32 v64, v64                                     // 000000007EF4: 7E804140
	v_exp_f32_e32 v65, v65                                     // 000000007EF8: 7E824141
	v_mfma_f32_16x16x16_f16 v[88:91], v[122:123], a[78:79], v[88:91]// 000000007EFC: D3CD0058 15629D7A
	v_exp_f32_e32 v66, v66                                     // 000000007F04: 7E844142
	v_exp_f32_e32 v67, v67                                     // 000000007F08: 7E864143
	v_mfma_f32_16x16x16_f16 v[92:95], v[116:117], a[80:81], 0  // 000000007F0C: D3CD005C 1202A174
	v_exp_f32_e32 v68, v68                                     // 000000007F14: 7E884144
	v_exp_f32_e32 v69, v69                                     // 000000007F18: 7E8A4145
	v_mfma_f32_16x16x16_f16 v[92:95], v[118:119], a[82:83], v[92:95]// 000000007F1C: D3CD005C 1572A576
	v_exp_f32_e32 v70, v70                                     // 000000007F24: 7E8C4146
	v_exp_f32_e32 v71, v71                                     // 000000007F28: 7E8E4147
	v_mfma_f32_16x16x16_f16 v[92:95], v[120:121], a[84:85], v[92:95]// 000000007F2C: D3CD005C 1572A978
	v_exp_f32_e32 v72, v72                                     // 000000007F34: 7E904148
	v_exp_f32_e32 v73, v73                                     // 000000007F38: 7E924149
	v_mfma_f32_16x16x16_f16 v[92:95], v[122:123], a[86:87], v[92:95]// 000000007F3C: D3CD005C 1572AD7A
	v_exp_f32_e32 v74, v74                                     // 000000007F44: 7E94414A
	v_exp_f32_e32 v75, v75                                     // 000000007F48: 7E96414B
	v_mfma_f32_16x16x16_f16 v[96:99], v[116:117], a[88:89], 0  // 000000007F4C: D3CD0060 1202B174
	v_cvt_pkrtz_f16_f32 v164, v52, v53                         // 000000007F54: D29600A4 00026B34
	v_cvt_pkrtz_f16_f32 v165, v54, v55                         // 000000007F5C: D29600A5 00026F36
	v_cvt_pkrtz_f16_f32 v166, v56, v57                         // 000000007F64: D29600A6 00027338
	v_cvt_pkrtz_f16_f32 v167, v58, v59                         // 000000007F6C: D29600A7 0002773A
	v_cvt_pkrtz_f16_f32 v168, v60, v61                         // 000000007F74: D29600A8 00027B3C
	v_cvt_pkrtz_f16_f32 v169, v62, v63                         // 000000007F7C: D29600A9 00027F3E
	v_mfma_f32_16x16x16_f16 v[96:99], v[118:119], a[90:91], v[96:99]// 000000007F84: D3CD0060 1582B576
	v_cvt_pkrtz_f16_f32 v170, v64, v65                         // 000000007F8C: D29600AA 00028340
	v_cvt_pkrtz_f16_f32 v171, v66, v67                         // 000000007F94: D29600AB 00028742
	v_cvt_pkrtz_f16_f32 v172, v68, v69                         // 000000007F9C: D29600AC 00028B44
	v_cvt_pkrtz_f16_f32 v173, v70, v71                         // 000000007FA4: D29600AD 00028F46
	v_cvt_pkrtz_f16_f32 v174, v72, v73                         // 000000007FAC: D29600AE 00029348
	v_cvt_pkrtz_f16_f32 v175, v74, v75                         // 000000007FB4: D29600AF 0002974A
	v_mfma_f32_16x16x16_f16 v[96:99], v[120:121], a[92:93], v[96:99]// 000000007FBC: D3CD0060 1582B978
	v_add_u32_e32 v6, s66, v6                                  // 000000007FC4: 680C0C42
	v_add_u32_e32 v7, s66, v7                                  // 000000007FC8: 680E0E42
	v_add_u32_e32 v8, s66, v8                                  // 000000007FCC: 68101042
	v_add_u32_e32 v9, s66, v9                                  // 000000007FD0: 68121242
	v_mfma_f32_16x16x16_f16 v[96:99], v[122:123], a[94:95], v[96:99]// 000000007FD4: D3CD0060 1582BD7A
	s_waitcnt lgkmcnt(0)                                       // 000000007FDC: BF8CC07F
	s_barrier                                                  // 000000007FE0: BF8A0000
	v_mfma_f32_16x16x16_f16 v[180:183], v[124:125], v[164:165], v[180:183]// 000000007FE4: D3CD00B4 06D3497C
	v_subrev_f32_dpp v76, v176, v76 quad_perm:[0,0,0,0] row_mask:0xf bank_mask:0xf// 000000007FEC: 069898FA FF0000B0
	v_subrev_f32_dpp v77, v176, v77 quad_perm:[1,1,1,1] row_mask:0xf bank_mask:0xf// 000000007FF4: 069A9AFA FF0055B0
	v_subrev_f32_dpp v78, v176, v78 quad_perm:[2,2,2,2] row_mask:0xf bank_mask:0xf// 000000007FFC: 069C9CFA FF00AAB0
	v_subrev_f32_dpp v79, v176, v79 quad_perm:[3,3,3,3] row_mask:0xf bank_mask:0xf// 000000008004: 069E9EFA FF00FFB0
	v_subrev_f32_dpp v80, v176, v80 quad_perm:[0,0,0,0] row_mask:0xf bank_mask:0xf// 00000000800C: 06A0A0FA FF0000B0
	v_subrev_f32_dpp v81, v176, v81 quad_perm:[1,1,1,1] row_mask:0xf bank_mask:0xf// 000000008014: 06A2A2FA FF0055B0
	v_mfma_f32_16x16x16_f16 v[184:187], v[126:127], v[164:165], v[184:187]// 00000000801C: D3CD00B8 06E3497E
	v_subrev_f32_dpp v82, v176, v82 quad_perm:[2,2,2,2] row_mask:0xf bank_mask:0xf// 000000008024: 06A4A4FA FF00AAB0
	v_subrev_f32_dpp v83, v176, v83 quad_perm:[3,3,3,3] row_mask:0xf bank_mask:0xf// 00000000802C: 06A6A6FA FF00FFB0
	v_subrev_f32_dpp v84, v176, v84 quad_perm:[0,0,0,0] row_mask:0xf bank_mask:0xf// 000000008034: 06A8A8FA FF0000B0
	v_subrev_f32_dpp v85, v176, v85 quad_perm:[1,1,1,1] row_mask:0xf bank_mask:0xf// 00000000803C: 06AAAAFA FF0055B0
	v_subrev_f32_dpp v86, v176, v86 quad_perm:[2,2,2,2] row_mask:0xf bank_mask:0xf// 000000008044: 06ACACFA FF00AAB0
	v_subrev_f32_dpp v87, v176, v87 quad_perm:[3,3,3,3] row_mask:0xf bank_mask:0xf// 00000000804C: 06AEAEFA FF00FFB0
	v_mfma_f32_16x16x16_f16 v[188:191], v[128:129], v[164:165], v[188:191]// 000000008054: D3CD00BC 06F34980
	v_mul_f32_e32 v76, v52, v76                                // 00000000805C: 0A989934
	v_mul_f32_e32 v77, v53, v77                                // 000000008060: 0A9A9B35
	v_mul_f32_e32 v78, v54, v78                                // 000000008064: 0A9C9D36
	v_mul_f32_e32 v79, v55, v79                                // 000000008068: 0A9E9F37
	v_mul_f32_e32 v80, v56, v80                                // 00000000806C: 0AA0A138
	v_mul_f32_e32 v81, v57, v81                                // 000000008070: 0AA2A339
	v_mfma_f32_16x16x16_f16 v[192:195], v[130:131], v[164:165], v[192:195]// 000000008074: D3CD00C0 07034982
	v_mul_f32_e32 v82, v58, v82                                // 00000000807C: 0AA4A53A
	v_mul_f32_e32 v83, v59, v83                                // 000000008080: 0AA6A73B
	v_mul_f32_e32 v84, v60, v84                                // 000000008084: 0AA8A93C
	v_mul_f32_e32 v85, v61, v85                                // 000000008088: 0AAAAB3D
	v_mul_f32_e32 v86, v62, v86                                // 00000000808C: 0AACAD3E
	v_mul_f32_e32 v87, v63, v87                                // 000000008090: 0AAEAF3F
	v_mfma_f32_16x16x16_f16 v[196:199], v[124:125], v[166:167], v[196:199]// 000000008094: D3CD00C4 07134D7C
	v_cvt_pkrtz_f16_f32 v76, v76, v77                          // 00000000809C: D296004C 00029B4C
	v_cvt_pkrtz_f16_f32 v77, v78, v79                          // 0000000080A4: D296004D 00029F4E
	v_cvt_pkrtz_f16_f32 v78, v80, v81                          // 0000000080AC: D296004E 0002A350
	v_cvt_pkrtz_f16_f32 v79, v82, v83                          // 0000000080B4: D296004F 0002A752
	v_cvt_pkrtz_f16_f32 v80, v84, v85                          // 0000000080BC: D2960050 0002AB54
	v_cvt_pkrtz_f16_f32 v81, v86, v87                          // 0000000080C4: D2960051 0002AF56
	v_mfma_f32_16x16x16_f16 v[200:203], v[126:127], v[166:167], v[200:203]// 0000000080CC: D3CD00C8 07234D7E
	v_mov_b32_dpp v18, v76 quad_perm:[1,0,3,2] row_mask:0xf bank_mask:0xf// 0000000080D4: 7E2402FA FF00B14C
	v_perm_b32 v52, v18, v76, v17                              // 0000000080DC: D1ED0034 04469912
	v_mov_b32_dpp v18, v77 quad_perm:[1,0,3,2] row_mask:0xf bank_mask:0xf// 0000000080E4: 7E2402FA FF00B14D
	v_perm_b32 v53, v18, v77, v17                              // 0000000080EC: D1ED0035 04469B12
	v_mov_b32_dpp v18, v78 quad_perm:[1,0,3,2] row_mask:0xf bank_mask:0xf// 0000000080F4: 7E2402FA FF00B14E
	v_perm_b32 v54, v18, v78, v17                              // 0000000080FC: D1ED0036 04469D12
	v_mfma_f32_16x16x16_f16 v[204:207], v[128:129], v[166:167], v[204:207]// 000000008104: D3CD00CC 07334D80
	ds_write_b32 v20, v52 offset:17408                         // 00000000810C: D81A4400 00003414
	ds_write_b32 v20, v53 offset:17952                         // 000000008114: D81A4620 00003514
	v_mfma_f32_16x16x16_f16 v[208:211], v[130:131], v[166:167], v[208:211]// 00000000811C: D3CD00D0 07434D82
	v_mov_b32_dpp v18, v79 quad_perm:[1,0,3,2] row_mask:0xf bank_mask:0xf// 000000008124: 7E2402FA FF00B14F
	v_perm_b32 v55, v18, v79, v17                              // 00000000812C: D1ED0037 04469F12
	v_mov_b32_dpp v18, v80 quad_perm:[1,0,3,2] row_mask:0xf bank_mask:0xf// 000000008134: 7E2402FA FF00B150
	v_perm_b32 v56, v18, v80, v17                              // 00000000813C: D1ED0038 0446A112
	v_mov_b32_dpp v18, v81 quad_perm:[1,0,3,2] row_mask:0xf bank_mask:0xf// 000000008144: 7E2402FA FF00B151
	v_perm_b32 v57, v18, v81, v17                              // 00000000814C: D1ED0039 0446A312
	v_mfma_f32_16x16x16_f16 v[212:215], v[124:125], v[168:169], v[212:215]// 000000008154: D3CD00D4 0753517C
	ds_write_b32 v20, v54 offset:19712                         // 00000000815C: D81A4D00 00003614
	ds_write_b32 v20, v55 offset:20256                         // 000000008164: D81A4F20 00003714
	v_mfma_f32_16x16x16_f16 v[216:219], v[126:127], v[168:169], v[216:219]// 00000000816C: D3CD00D8 0763517E
	v_subrev_f32_dpp v88, v177, v88 quad_perm:[0,0,0,0] row_mask:0xf bank_mask:0xf// 000000008174: 06B0B0FA FF0000B1
	v_subrev_f32_dpp v89, v177, v89 quad_perm:[1,1,1,1] row_mask:0xf bank_mask:0xf// 00000000817C: 06B2B2FA FF0055B1
	v_subrev_f32_dpp v90, v177, v90 quad_perm:[2,2,2,2] row_mask:0xf bank_mask:0xf// 000000008184: 06B4B4FA FF00AAB1
	v_subrev_f32_dpp v91, v177, v91 quad_perm:[3,3,3,3] row_mask:0xf bank_mask:0xf// 00000000818C: 06B6B6FA FF00FFB1
	v_subrev_f32_dpp v92, v177, v92 quad_perm:[0,0,0,0] row_mask:0xf bank_mask:0xf// 000000008194: 06B8B8FA FF0000B1
	v_subrev_f32_dpp v93, v177, v93 quad_perm:[1,1,1,1] row_mask:0xf bank_mask:0xf// 00000000819C: 06BABAFA FF0055B1
	v_mfma_f32_16x16x16_f16 v[220:223], v[128:129], v[168:169], v[220:223]// 0000000081A4: D3CD00DC 07735180
	ds_write_b32 v20, v56 offset:22016                         // 0000000081AC: D81A5600 00003814
	ds_write_b32 v20, v57 offset:22560                         // 0000000081B4: D81A5820 00003914
	v_mfma_f32_16x16x16_f16 v[224:227], v[130:131], v[168:169], v[224:227]// 0000000081BC: D3CD00E0 07835182
	v_subrev_f32_dpp v94, v177, v94 quad_perm:[2,2,2,2] row_mask:0xf bank_mask:0xf// 0000000081C4: 06BCBCFA FF00AAB1
	v_subrev_f32_dpp v95, v177, v95 quad_perm:[3,3,3,3] row_mask:0xf bank_mask:0xf// 0000000081CC: 06BEBEFA FF00FFB1
	v_subrev_f32_dpp v96, v177, v96 quad_perm:[0,0,0,0] row_mask:0xf bank_mask:0xf// 0000000081D4: 06C0C0FA FF0000B1
	v_subrev_f32_dpp v97, v177, v97 quad_perm:[1,1,1,1] row_mask:0xf bank_mask:0xf// 0000000081DC: 06C2C2FA FF0055B1
	v_subrev_f32_dpp v98, v177, v98 quad_perm:[2,2,2,2] row_mask:0xf bank_mask:0xf// 0000000081E4: 06C4C4FA FF00AAB1
	v_subrev_f32_dpp v99, v177, v99 quad_perm:[3,3,3,3] row_mask:0xf bank_mask:0xf// 0000000081EC: 06C6C6FA FF00FFB1
	v_mfma_f32_16x16x16_f16 v[180:183], v[132:133], v[170:171], v[180:183]// 0000000081F4: D3CD00B4 06D35584
	v_mul_f32_e32 v88, v64, v88                                // 0000000081FC: 0AB0B140
	v_mul_f32_e32 v89, v65, v89                                // 000000008200: 0AB2B341
	v_mul_f32_e32 v90, v66, v90                                // 000000008204: 0AB4B542
	v_mul_f32_e32 v91, v67, v91                                // 000000008208: 0AB6B743
	v_mul_f32_e32 v92, v68, v92                                // 00000000820C: 0AB8B944
	v_mul_f32_e32 v93, v69, v93                                // 000000008210: 0ABABB45
	v_mfma_f32_16x16x16_f16 v[184:187], v[134:135], v[170:171], v[184:187]// 000000008214: D3CD00B8 06E35586
	v_mul_f32_e32 v94, v70, v94                                // 00000000821C: 0ABCBD46
	v_mul_f32_e32 v95, v71, v95                                // 000000008220: 0ABEBF47
	v_mul_f32_e32 v96, v72, v96                                // 000000008224: 0AC0C148
	v_mul_f32_e32 v97, v73, v97                                // 000000008228: 0AC2C349
	v_mul_f32_e32 v98, v74, v98                                // 00000000822C: 0AC4C54A
	v_mul_f32_e32 v99, v75, v99                                // 000000008230: 0AC6C74B
	v_mfma_f32_16x16x16_f16 v[188:191], v[136:137], v[170:171], v[188:191]// 000000008234: D3CD00BC 06F35588
	v_cvt_pkrtz_f16_f32 v82, v88, v89                          // 00000000823C: D2960052 0002B358
	v_cvt_pkrtz_f16_f32 v83, v90, v91                          // 000000008244: D2960053 0002B75A
	v_cvt_pkrtz_f16_f32 v84, v92, v93                          // 00000000824C: D2960054 0002BB5C
	v_cvt_pkrtz_f16_f32 v85, v94, v95                          // 000000008254: D2960055 0002BF5E
	v_cvt_pkrtz_f16_f32 v86, v96, v97                          // 00000000825C: D2960056 0002C360
	v_cvt_pkrtz_f16_f32 v87, v98, v99                          // 000000008264: D2960057 0002C762
	v_mfma_f32_16x16x16_f16 v[192:195], v[138:139], v[170:171], v[192:195]// 00000000826C: D3CD00C0 0703558A
	v_mov_b32_dpp v18, v82 quad_perm:[1,0,3,2] row_mask:0xf bank_mask:0xf// 000000008274: 7E2402FA FF00B152
	v_perm_b32 v58, v18, v82, v17                              // 00000000827C: D1ED003A 0446A512
	v_mov_b32_dpp v18, v83 quad_perm:[1,0,3,2] row_mask:0xf bank_mask:0xf// 000000008284: 7E2402FA FF00B153
	v_perm_b32 v59, v18, v83, v17                              // 00000000828C: D1ED003B 0446A712
	v_mov_b32_dpp v18, v84 quad_perm:[1,0,3,2] row_mask:0xf bank_mask:0xf// 000000008294: 7E2402FA FF00B154
	v_perm_b32 v60, v18, v84, v17                              // 00000000829C: D1ED003C 0446A912
	v_mfma_f32_16x16x16_f16 v[196:199], v[132:133], v[172:173], v[196:199]// 0000000082A4: D3CD00C4 07135984
	ds_write_b32 v20, v58 offset:24320                         // 0000000082AC: D81A5F00 00003A14
	ds_write_b32 v20, v59 offset:24864                         // 0000000082B4: D81A6120 00003B14
	v_mfma_f32_16x16x16_f16 v[200:203], v[134:135], v[172:173], v[200:203]// 0000000082BC: D3CD00C8 07235986
	v_mov_b32_dpp v18, v85 quad_perm:[1,0,3,2] row_mask:0xf bank_mask:0xf// 0000000082C4: 7E2402FA FF00B155
	v_perm_b32 v61, v18, v85, v17                              // 0000000082CC: D1ED003D 0446AB12
	v_mov_b32_dpp v18, v86 quad_perm:[1,0,3,2] row_mask:0xf bank_mask:0xf// 0000000082D4: 7E2402FA FF00B156
	v_perm_b32 v62, v18, v86, v17                              // 0000000082DC: D1ED003E 0446AD12
	v_mov_b32_dpp v18, v87 quad_perm:[1,0,3,2] row_mask:0xf bank_mask:0xf// 0000000082E4: 7E2402FA FF00B157
	v_perm_b32 v63, v18, v87, v17                              // 0000000082EC: D1ED003F 0446AF12
	v_mfma_f32_16x16x16_f16 v[204:207], v[136:137], v[172:173], v[204:207]// 0000000082F4: D3CD00CC 07335988
	ds_write_b32 v20, v60 offset:26624                         // 0000000082FC: D81A6800 00003C14
	ds_write_b32 v20, v61 offset:27168                         // 000000008304: D81A6A20 00003D14
	ds_write_b32 v20, v62 offset:28928                         // 00000000830C: D81A7100 00003E14
	ds_write_b32 v20, v63 offset:29472                         // 000000008314: D81A7320 00003F14
	v_mfma_f32_16x16x16_f16 v[208:211], v[138:139], v[172:173], v[208:211]// 00000000831C: D3CD00D0 0743598A
	v_mfma_f32_16x16x16_f16 v[212:215], v[132:133], v[174:175], v[212:215]// 000000008324: D3CD00D4 07535D84
	ds_write_b32 v15, v100 offset:4352                         // 00000000832C: D81A1100 0000640F
	ds_write_b32 v15, v101 offset:5408                         // 000000008334: D81A1520 0000650F
	v_mfma_f32_16x16x16_f16 v[216:219], v[134:135], v[174:175], v[216:219]// 00000000833C: D3CD00D8 07635D86
	v_mfma_f32_16x16x16_f16 v[220:223], v[136:137], v[174:175], v[220:223]// 000000008344: D3CD00DC 07735D88
	ds_write_b32 v15, v102 offset:6528                         // 00000000834C: D81A1980 0000660F
	ds_write_b32 v15, v103 offset:7584                         // 000000008354: D81A1DA0 0000670F
	v_mfma_f32_16x16x16_f16 v[224:227], v[138:139], v[174:175], v[224:227]// 00000000835C: D3CD00E0 07835D8A
	s_nop 0                                                    // 000000008364: BF800000
	s_nop 0                                                    // 000000008368: BF800000
	s_nop 0                                                    // 00000000836C: BF800000
	s_barrier                                                  // 000000008370: BF8A0000
	v_mfma_f32_16x16x16_f16 a[112:115], a[96:97], v[76:77], a[112:115]// 000000008374: D3CD8070 0DC29960
	ds_read_b32 v140, v23 offset:39936                         // 00000000837C: D86C9C00 8C000017
	ds_read_b32 v144, v23 offset:40000                         // 000000008384: D86C9C40 90000017
	ds_read_b32 v176, v23 offset:40192                         // 00000000838C: D86C9D00 B0000017
	ds_read_b32 v177, v23 offset:40256                         // 000000008394: D86C9D40 B1000017
	v_mfma_f32_16x16x16_f16 a[116:119], a[98:99], v[76:77], a[116:119]// 00000000839C: D3CD8074 0DD29962
	buffer_atomic_add_f32 v156, v6, s[32:35], 0 idxen          // 0000000083A4: E1342000 80089C06
	v_mfma_f32_16x16x16_f16 a[120:123], a[100:101], v[76:77], a[120:123]// 0000000083AC: D3CD8078 0DE29964
	s_waitcnt lgkmcnt(8)                                       // 0000000083B4: BF8CC87F
	s_barrier                                                  // 0000000083B8: BF8A0000
	v_mfma_f32_16x16x16_f16 a[124:127], a[102:103], v[76:77], a[124:127]// 0000000083BC: D3CD807C 0DF29966
	v_mfma_f32_16x16x16_f16 a[128:131], a[96:97], v[78:79], a[128:131]// 0000000083C4: D3CD8080 0E029D60
	ds_read_b128 v[52:55], v19 offset:17408                    // 0000000083CC: D9FE4400 34000013
	v_mfma_f32_16x16x16_f16 a[132:135], a[98:99], v[78:79], a[132:135]// 0000000083D4: D3CD8084 0E129D62
	v_mfma_f32_16x16x16_f16 a[136:139], a[100:101], v[78:79], a[136:139]// 0000000083DC: D3CD8088 0E229D64
	ds_read_b128 v[56:59], v19 offset:18560                    // 0000000083E4: D9FE4880 38000013
	v_mfma_f32_16x16x16_f16 a[140:143], a[102:103], v[78:79], a[140:143]// 0000000083EC: D3CD808C 0E329D66
	buffer_atomic_add_f32 v157, v7, s[32:35], 0 idxen          // 0000000083F4: E1342000 80089D07
	v_mfma_f32_16x16x16_f16 a[144:147], a[96:97], v[80:81], a[144:147]// 0000000083FC: D3CD8090 0E42A160
	ds_read_b128 v[60:63], v19 offset:19712                    // 000000008404: D9FE4D00 3C000013
	v_mfma_f32_16x16x16_f16 a[148:151], a[98:99], v[80:81], a[148:151]// 00000000840C: D3CD8094 0E52A162
	v_mfma_f32_16x16x16_f16 a[152:155], a[100:101], v[80:81], a[152:155]// 000000008414: D3CD8098 0E62A164
	ds_read_b128 v[64:67], v19 offset:20864                    // 00000000841C: D9FE5180 40000013
	v_mfma_f32_16x16x16_f16 a[156:159], a[102:103], v[80:81], a[156:159]// 000000008424: D3CD809C 0E72A166
	v_mfma_f32_16x16x16_f16 a[112:115], a[104:105], v[82:83], a[112:115]// 00000000842C: D3CD8070 0DC2A568
	ds_read_b128 v[68:71], v19 offset:22016                    // 000000008434: D9FE5600 44000013
	v_mfma_f32_16x16x16_f16 a[116:119], a[106:107], v[82:83], a[116:119]// 00000000843C: D3CD8074 0DD2A56A
	buffer_atomic_add_f32 v158, v6, s[32:35], 0 idxen offset:128// 000000008444: E1342080 80089E06
	v_mfma_f32_16x16x16_f16 a[120:123], a[108:109], v[82:83], a[120:123]// 00000000844C: D3CD8078 0DE2A56C
	ds_read_b128 v[72:75], v19 offset:23168                    // 000000008454: D9FE5A80 48000013
	v_mfma_f32_16x16x16_f16 a[124:127], a[110:111], v[82:83], a[124:127]// 00000000845C: D3CD807C 0DF2A56E
	v_mfma_f32_16x16x16_f16 a[128:131], a[104:105], v[84:85], a[128:131]// 000000008464: D3CD8080 0E02A968
	ds_write_b32 v15, v104 offset:13056                        // 00000000846C: D81A3300 0000680F
	v_mfma_f32_16x16x16_f16 a[132:135], a[106:107], v[84:85], a[132:135]// 000000008474: D3CD8084 0E12A96A
	v_mfma_f32_16x16x16_f16 a[136:139], a[108:109], v[84:85], a[136:139]// 00000000847C: D3CD8088 0E22A96C
	ds_write_b32 v15, v105 offset:14112                        // 000000008484: D81A3720 0000690F
	v_mfma_f32_16x16x16_f16 a[140:143], a[110:111], v[84:85], a[140:143]// 00000000848C: D3CD808C 0E32A96E
	buffer_atomic_add_f32 v159, v7, s[32:35], 0 idxen offset:128// 000000008494: E1342080 80089F07
	v_mfma_f32_16x16x16_f16 a[144:147], a[104:105], v[86:87], a[144:147]// 00000000849C: D3CD8090 0E42AD68
	ds_write_b32 v15, v106 offset:15232                        // 0000000084A4: D81A3B80 00006A0F
	v_mfma_f32_16x16x16_f16 a[148:151], a[106:107], v[86:87], a[148:151]// 0000000084AC: D3CD8094 0E52AD6A
	v_mfma_f32_16x16x16_f16 a[152:155], a[108:109], v[86:87], a[152:155]// 0000000084B4: D3CD8098 0E62AD6C
	ds_write_b32 v15, v107 offset:16288                        // 0000000084BC: D81A3FA0 00006B0F
	v_mfma_f32_16x16x16_f16 a[156:159], a[110:111], v[86:87], a[156:159]// 0000000084C4: D3CD809C 0E72AD6E
	s_waitcnt vmcnt(8) lgkmcnt(4)                              // 0000000084CC: BF8C0478
	s_barrier                                                  // 0000000084D0: BF8A0000
	v_mfma_f32_16x16x16_f16 v[148:151], v[52:53], a[24:25], 0  // 0000000084D4: D3CD0094 12023134
	ds_read_b128 a[96:99], v12                                 // 0000000084DC: DBFE0000 6000000C
	buffer_load_dword v40, v1, s[8:11], 0 idxen                // 0000000084E4: E0502000 80022801
	v_mfma_f32_16x16x16_f16 v[148:151], v[54:55], a[28:29], v[148:151]// 0000000084EC: D3CD0094 16523936
	v_mul_f32_e32 v140, s48, v140                              // 0000000084F4: 0B191830
	v_mul_f32_e32 v144, s48, v144                              // 0000000084F8: 0B212030
	s_nop 0                                                    // 0000000084FC: BF800000
	v_mfma_f32_16x16x16_f16 v[148:151], v[56:57], a[32:33], v[148:151]// 000000008500: D3CD0094 16524138
	ds_read_b128 a[100:103], v12 offset:512                    // 000000008508: DBFE0200 6400000C
	buffer_load_dword v41, v2, s[8:11], 0 idxen                // 000000008510: E0502000 80022902
	v_mfma_f32_16x16x16_f16 v[148:151], v[58:59], a[36:37], v[148:151]// 000000008518: D3CD0094 1652493A
	v_mfma_f32_16x16x16_f16 v[148:151], v[60:61], a[40:41], v[148:151]// 000000008520: D3CD0094 1652513C
	ds_read_b128 a[104:107], v12 offset:2176                   // 000000008528: DBFE0880 6800000C
	buffer_load_dword v42, v3, s[8:11], 0 idxen                // 000000008530: E0502000 80022A03
	v_mfma_f32_16x16x16_f16 v[148:151], v[62:63], a[44:45], v[148:151]// 000000008538: D3CD0094 1652593E
	v_perm_b32 v100, v37, v36, s63                             // 000000008540: D1ED0064 00FE4925
	v_perm_b32 v101, v37, v36, s64                             // 000000008548: D1ED0065 01024925
	v_mfma_f32_16x16x16_f16 v[148:151], v[64:65], a[48:49], v[148:151]// 000000008550: D3CD0094 16526140
	ds_read_b128 a[108:111], v12 offset:2688                   // 000000008558: DBFE0A80 6C00000C
	buffer_load_dword v43, v4, s[8:11], 0 idxen                // 000000008560: E0502000 80022B04
	v_mfma_f32_16x16x16_f16 v[148:151], v[66:67], a[52:53], v[148:151]// 000000008568: D3CD0094 16526942
	v_perm_b32 v102, v39, v38, s63                             // 000000008570: D1ED0066 00FE4D27
	v_perm_b32 v103, v39, v38, s64                             // 000000008578: D1ED0067 01024D27
	v_mfma_f32_16x16x16_f16 v[148:151], v[68:69], a[56:57], v[148:151]// 000000008580: D3CD0094 16527144
	ds_read_b128 v[108:111], v12 offset:8704                   // 000000008588: D9FE2200 6C00000C
	buffer_load_dword v48, v228, s[20:23], 0 idxen             // 000000008590: E0502000 800530E4
	v_mfma_f32_16x16x16_f16 v[148:151], v[70:71], a[60:61], v[148:151]// 000000008598: D3CD0094 16527946
	v_perm_b32 v104, v45, v44, s63                             // 0000000085A0: D1ED0068 00FE592D
	v_perm_b32 v105, v45, v44, s64                             // 0000000085A8: D1ED0069 0102592D
	v_mfma_f32_16x16x16_f16 v[148:151], v[72:73], a[64:65], v[148:151]// 0000000085B0: D3CD0094 16528148
	ds_read_b128 v[112:115], v12 offset:9216                   // 0000000085B8: D9FE2400 7000000C
	buffer_load_dword v49, v229, s[20:23], 0 idxen             // 0000000085C0: E0502000 800531E5
	v_mfma_f32_16x16x16_f16 v[148:151], v[74:75], a[68:69], v[148:151]// 0000000085C8: D3CD0094 1652894A
	v_perm_b32 v106, v47, v46, s63                             // 0000000085D0: D1ED006A 00FE5D2F
	v_perm_b32 v107, v47, v46, s64                             // 0000000085D8: D1ED006B 01025D2F
	v_mfma_f32_16x16x16_f16 v[152:155], v[52:53], a[26:27], 0  // 0000000085E0: D3CD0098 12023534
	ds_read_b128 v[116:119], v12 offset:10880                  // 0000000085E8: D9FE2A80 7400000C
	buffer_load_dword v50, v230, s[20:23], 0 idxen             // 0000000085F0: E0502000 800532E6
	v_mfma_f32_16x16x16_f16 v[152:155], v[54:55], a[30:31], v[152:155]// 0000000085F8: D3CD0098 16623D36
	v_mov_b32_dpp v143, v140 quad_perm:[3,3,3,3] row_mask:0xf bank_mask:0xf// 000000008600: 7F1E02FA FF00FF8C
	v_mov_b32_dpp v142, v140 quad_perm:[2,2,2,2] row_mask:0xf bank_mask:0xf// 000000008608: 7F1C02FA FF00AA8C
	v_mov_b32_dpp v141, v140 quad_perm:[1,1,1,1] row_mask:0xf bank_mask:0xf// 000000008610: 7F1A02FA FF00558C
	v_mov_b32_dpp v140, v140 quad_perm:[0,0,0,0] row_mask:0xf bank_mask:0xf// 000000008618: 7F1802FA FF00008C
	v_mfma_f32_16x16x16_f16 v[152:155], v[56:57], a[34:35], v[152:155]// 000000008620: D3CD0098 16624538
	ds_read_b128 v[120:123], v12 offset:11392                  // 000000008628: D9FE2C80 7800000C
	buffer_load_dword v51, v231, s[20:23], 0 idxen             // 000000008630: E0502000 800533E7
	v_mfma_f32_16x16x16_f16 v[152:155], v[58:59], a[38:39], v[152:155]// 000000008638: D3CD0098 16624D3A
	v_mov_b32_dpp v147, v144 quad_perm:[3,3,3,3] row_mask:0xf bank_mask:0xf// 000000008640: 7F2602FA FF00FF90
	v_mov_b32_dpp v146, v144 quad_perm:[2,2,2,2] row_mask:0xf bank_mask:0xf// 000000008648: 7F2402FA FF00AA90
	v_mov_b32_dpp v145, v144 quad_perm:[1,1,1,1] row_mask:0xf bank_mask:0xf// 000000008650: 7F2202FA FF005590
	v_mov_b32_dpp v144, v144 quad_perm:[0,0,0,0] row_mask:0xf bank_mask:0xf// 000000008658: 7F2002FA FF000090
	s_add_u32 s60, 0x80, s59                                   // 000000008660: 803C3BFF 00000080
	v_mfma_f32_16x16x16_f16 v[152:155], v[60:61], a[42:43], v[152:155]// 000000008668: D3CD0098 1662553C
	buffer_load_dword v11, s[24:27], 0 idxen lds               // 000000008670: E0512000 8006000B
	v_mfma_f32_16x16x16_f16 v[152:155], v[62:63], a[46:47], v[152:155]// 000000008678: D3CD0098 16625D3E
	s_cmp_lt_u32 s60, s58                                      // 000000008680: BF0A3A3C
	s_cselect_b32 s68, s68, 0                                  // 000000008684: 85448044
	s_cselect_b32 s100, s100, 0                                // 000000008688: 85648064
	s_cselect_b32 s69, s69, 0                                  // 00000000868C: 85458045
	v_mfma_f32_16x16x16_f16 v[152:155], v[64:65], a[50:51], v[152:155]// 000000008690: D3CD0098 16626540
	v_add_u32_e32 v1, s68, v1                                  // 000000008698: 68020244
	v_add_u32_e32 v2, s68, v2                                  // 00000000869C: 68040444
	v_add_u32_e32 v3, s68, v3                                  // 0000000086A0: 68060644
	v_add_u32_e32 v4, s68, v4                                  // 0000000086A4: 68080844
	v_mfma_f32_16x16x16_f16 v[152:155], v[66:67], a[54:55], v[152:155]// 0000000086A8: D3CD0098 16626D42
	v_add_u32_e32 v228, s100, v228                             // 0000000086B0: 69C9C864
	v_add_u32_e32 v229, s100, v229                             // 0000000086B4: 69CBCA64
	v_add_u32_e32 v230, s100, v230                             // 0000000086B8: 69CDCC64
	v_add_u32_e32 v231, s100, v231                             // 0000000086BC: 69CFCE64
	v_mfma_f32_16x16x16_f16 v[152:155], v[68:69], a[58:59], v[152:155]// 0000000086C0: D3CD0098 16627544
	s_mov_b32 m0, s78                                          // 0000000086C8: BEFC004E
	v_add_u32_e32 v11, s69, v11                                // 0000000086CC: 68161645
	v_mfma_f32_16x16x16_f16 v[152:155], v[70:71], a[62:63], v[152:155]// 0000000086D0: D3CD0098 16627D46
	s_cmp_ge_u32 s59, s73                                      // 0000000086D8: BF09493B
	s_cselect_b32 s66, s67, s66                                // 0000000086DC: 85424243
	v_mfma_f32_16x16x16_f16 v[152:155], v[72:73], a[66:67], v[152:155]// 0000000086E0: D3CD0098 16628548
	s_addk_i32 s59, 0x20                                       // 0000000086E8: B73B0020
	s_nop 0                                                    // 0000000086EC: BF800000
	s_cmp_lt_i32 s59, s58                                      // 0000000086F0: BF043A3B
	v_mfma_f32_16x16x16_f16 v[152:155], v[74:75], a[70:71], v[152:155]// 0000000086F4: D3CD0098 16628D4A
	s_cbranch_scc0 label_0E0B                                  // 0000000086FC: BF84FC39
	s_waitcnt lgkmcnt(4)                                       // 000000008700: BF8CC47F
	s_barrier                                                  // 000000008704: BF8A0000
	v_mfma_f32_16x16x16_f16 v[52:55], a[96:97], a[0:1], 0      // 000000008708: D3CD0034 1A020160
	v_mul_f32_e32 v148, s47, v148                              // 000000008710: 0B29282F
	v_mul_f32_e32 v149, s47, v149                              // 000000008714: 0B2B2A2F
	v_mfma_f32_16x16x16_f16 v[52:55], a[98:99], a[2:3], v[52:55]// 000000008718: D3CD0034 1CD20562
	ds_write_b32 v13, v44 offset:8704                          // 000000008720: D81A2200 00002C0D
	ds_write_b32 v13, v45 offset:9760                          // 000000008728: D81A2620 00002D0D
	v_mfma_f32_16x16x16_f16 v[52:55], a[100:101], a[4:5], v[52:55]// 000000008730: D3CD0034 1CD20964
	v_mul_f32_e32 v150, s47, v150                              // 000000008738: 0B2D2C2F
	v_mul_f32_e32 v151, s47, v151                              // 00000000873C: 0B2F2E2F
	v_mfma_f32_16x16x16_f16 v[52:55], a[102:103], a[6:7], v[52:55]// 000000008740: D3CD0034 1CD20D66
	ds_write_b32 v13, v46 offset:10880                         // 000000008748: D81A2A80 00002E0D
	ds_write_b32 v13, v47 offset:11936                         // 000000008750: D81A2EA0 00002F0D
	v_mfma_f32_16x16x16_f16 v[56:59], a[96:97], a[8:9], 0      // 000000008758: D3CD0038 1A021160
	v_mul_f32_e32 v152, s47, v152                              // 000000008760: 0B31302F
	v_mul_f32_e32 v153, s47, v153                              // 000000008764: 0B33322F
	v_mfma_f32_16x16x16_f16 v[56:59], a[98:99], a[10:11], v[56:59]// 000000008768: D3CD0038 1CE21562
	ds_write_b64 v22, v[148:149] offset:31232                  // 000000008770: D89A7A00 00009416
	v_mfma_f32_16x16x16_f16 v[56:59], a[100:101], a[12:13], v[56:59]// 000000008778: D3CD0038 1CE21964
	v_mul_f32_e32 v154, s47, v154                              // 000000008780: 0B35342F
	v_mul_f32_e32 v155, s47, v155                              // 000000008784: 0B37362F
	v_mfma_f32_16x16x16_f16 v[56:59], a[102:103], a[14:15], v[56:59]// 000000008788: D3CD0038 1CE21D66
	ds_write_b64 v22, v[150:151] offset:31744                  // 000000008790: D89A7C00 00009616
	v_mfma_f32_16x16x16_f16 v[60:63], a[96:97], a[16:17], 0    // 000000008798: D3CD003C 1A022160
	buffer_atomic_add_f32 v160, v8, s[32:35], 0 idxen          // 0000000087A0: E1342000 8008A008
	v_mfma_f32_16x16x16_f16 v[60:63], a[98:99], a[18:19], v[60:63]// 0000000087A8: D3CD003C 1CF22562
	ds_write_b64 v22, v[152:153] offset:32256                  // 0000000087B0: D89A7E00 00009816
	v_mfma_f32_16x16x16_f16 v[60:63], a[100:101], a[20:21], v[60:63]// 0000000087B8: D3CD003C 1CF22964
	v_mfma_f32_16x16x16_f16 v[60:63], a[102:103], a[22:23], v[60:63]// 0000000087C0: D3CD003C 1CF22D66
	ds_write_b64 v22, v[154:155] offset:32768                  // 0000000087C8: D89A8000 00009A16
	v_mfma_f32_16x16x16_f16 v[64:67], a[104:105], a[0:1], 0    // 0000000087D0: D3CD0040 1A020168
	buffer_atomic_add_f32 v161, v9, s[32:35], 0 idxen          // 0000000087D8: E1342000 8008A109
	v_mfma_f32_16x16x16_f16 v[64:67], a[106:107], a[2:3], v[64:67]// 0000000087E0: D3CD0040 1D02056A
	ds_read_b128 v[124:127], v14 offset:13056                  // 0000000087E8: D9FE3300 7C00000E
	ds_write_b32 v13, v36                                      // 0000000087F0: D81A0000 0000240D
	v_mfma_f32_16x16x16_f16 v[64:67], a[108:109], a[4:5], v[64:67]// 0000000087F8: D3CD0040 1D02096C
	v_mfma_f32_16x16x16_f16 v[64:67], a[110:111], a[6:7], v[64:67]// 000000008800: D3CD0040 1D020D6E
	v_mfma_f32_16x16x16_f16 v[68:71], a[104:105], a[8:9], 0    // 000000008808: D3CD0044 1A021168
	ds_read_b128 v[128:131], v14 offset:13568                  // 000000008810: D9FE3500 8000000E
	ds_write_b32 v13, v37 offset:1056                          // 000000008818: D81A0420 0000250D
	v_mfma_f32_16x16x16_f16 v[68:71], a[106:107], a[10:11], v[68:71]// 000000008820: D3CD0044 1D12156A
	buffer_atomic_add_f32 v162, v8, s[32:35], 0 idxen offset:128// 000000008828: E1342080 8008A208
	v_mfma_f32_16x16x16_f16 v[68:71], a[108:109], a[12:13], v[68:71]// 000000008830: D3CD0044 1D12196C
	v_mfma_f32_16x16x16_f16 v[68:71], a[110:111], a[14:15], v[68:71]// 000000008838: D3CD0044 1D121D6E
	ds_read_b128 v[132:135], v14 offset:15232                  // 000000008840: D9FE3B80 8400000E
	ds_write_b32 v13, v38 offset:2176                          // 000000008848: D81A0880 0000260D
	v_mfma_f32_16x16x16_f16 v[72:75], a[104:105], a[16:17], 0  // 000000008850: D3CD0048 1A022168
	v_mfma_f32_16x16x16_f16 v[72:75], a[106:107], a[18:19], v[72:75]// 000000008858: D3CD0048 1D22256A
	buffer_atomic_add_f32 v163, v9, s[32:35], 0 idxen offset:128// 000000008860: E1342080 8008A309
	v_mfma_f32_16x16x16_f16 v[72:75], a[108:109], a[20:21], v[72:75]// 000000008868: D3CD0048 1D22296C
	ds_read_b128 v[136:139], v14 offset:15744                  // 000000008870: D9FE3D80 8800000E
	ds_write_b32 v13, v39 offset:3232                          // 000000008878: D81A0CA0 0000270D
	v_mfma_f32_16x16x16_f16 v[72:75], a[110:111], a[22:23], v[72:75]// 000000008880: D3CD0048 1D222D6E
	s_cmp_eq_i32 s80, 0                                        // 000000008888: BF008050
	s_cbranch_scc1 label_1338                                  // 00000000888C: BF8500F0
	s_cmp_lt_i32 s74, 6                                        // 000000008890: BF04864A
	s_cbranch_scc0 label_12BF                                  // 000000008894: BF84007E
	s_lshl_b32 s60, s74, 5                                     // 000000008898: 8E3C854A
	s_lshl_b32 s61, 0, 4                                       // 00000000889C: 8E3D8480
	s_add_i32 s60, s60, s61                                    // 0000000088A0: 813C3D3C
	v_sub_i32 v32, v232, s60                                   // 0000000088A4: D29D0020 000079E8
	s_mov_b32 s61, 0                                           // 0000000088AC: BEBD0080
	v_add_i32 v33, v32, s61                                    // 0000000088B0: D29C0021 00007B20
	v_cmp_gt_i32_e64 s[70:71], v33, 0                          // 0000000088B8: D0C40046 00010121
	v_cmp_gt_i32_e64 s[82:83], v33, 1                          // 0000000088C0: D0C40052 00010321
	v_cndmask_b32_e64 v52, v52, v178, s[70:71]                 // 0000000088C8: D1000034 011B6534
	v_cndmask_b32_e64 v53, v53, v178, s[82:83]                 // 0000000088D0: D1000035 014B6535
	v_cmp_gt_i32_e64 s[70:71], v33, 2                          // 0000000088D8: D0C40046 00010521
	v_cmp_gt_i32_e64 s[82:83], v33, 3                          // 0000000088E0: D0C40052 00010721
	v_cndmask_b32_e64 v54, v54, v178, s[70:71]                 // 0000000088E8: D1000036 011B6536
	v_cndmask_b32_e64 v55, v55, v178, s[82:83]                 // 0000000088F0: D1000037 014B6537
	s_mov_b32 s61, 64                                          // 0000000088F8: BEBD00C0
	v_add_i32 v33, v32, s61                                    // 0000000088FC: D29C0021 00007B20
	v_cmp_gt_i32_e64 s[70:71], v33, 0                          // 000000008904: D0C40046 00010121
	v_cmp_gt_i32_e64 s[82:83], v33, 1                          // 00000000890C: D0C40052 00010321
	v_cndmask_b32_e64 v56, v56, v178, s[70:71]                 // 000000008914: D1000038 011B6538
	v_cndmask_b32_e64 v57, v57, v178, s[82:83]                 // 00000000891C: D1000039 014B6539
	v_cmp_gt_i32_e64 s[70:71], v33, 2                          // 000000008924: D0C40046 00010521
	v_cmp_gt_i32_e64 s[82:83], v33, 3                          // 00000000892C: D0C40052 00010721
	v_cndmask_b32_e64 v58, v58, v178, s[70:71]                 // 000000008934: D100003A 011B653A
	v_cndmask_b32_e64 v59, v59, v178, s[82:83]                 // 00000000893C: D100003B 014B653B
	s_mov_b32 s61, 0x80                                        // 000000008944: BEBD00FF 00000080
	v_add_i32 v33, v32, s61                                    // 00000000894C: D29C0021 00007B20
	v_cmp_gt_i32_e64 s[70:71], v33, 0                          // 000000008954: D0C40046 00010121
	v_cmp_gt_i32_e64 s[82:83], v33, 1                          // 00000000895C: D0C40052 00010321
	v_cndmask_b32_e64 v60, v60, v178, s[70:71]                 // 000000008964: D100003C 011B653C
	v_cndmask_b32_e64 v61, v61, v178, s[82:83]                 // 00000000896C: D100003D 014B653D
	v_cmp_gt_i32_e64 s[70:71], v33, 2                          // 000000008974: D0C40046 00010521
	v_cmp_gt_i32_e64 s[82:83], v33, 3                          // 00000000897C: D0C40052 00010721
	v_cndmask_b32_e64 v62, v62, v178, s[70:71]                 // 000000008984: D100003E 011B653E
	v_cndmask_b32_e64 v63, v63, v178, s[82:83]                 // 00000000898C: D100003F 014B653F
	s_lshl_b32 s60, s74, 5                                     // 000000008994: 8E3C854A
	s_lshl_b32 s61, 1, 4                                       // 000000008998: 8E3D8481
	s_add_i32 s60, s60, s61                                    // 00000000899C: 813C3D3C
	v_sub_i32 v32, v232, s60                                   // 0000000089A0: D29D0020 000079E8
	s_mov_b32 s61, 0                                           // 0000000089A8: BEBD0080
	v_add_i32 v33, v32, s61                                    // 0000000089AC: D29C0021 00007B20
	v_cmp_gt_i32_e64 s[70:71], v33, 0                          // 0000000089B4: D0C40046 00010121
	v_cmp_gt_i32_e64 s[82:83], v33, 1                          // 0000000089BC: D0C40052 00010321
	v_cndmask_b32_e64 v64, v64, v178, s[70:71]                 // 0000000089C4: D1000040 011B6540
	v_cndmask_b32_e64 v65, v65, v178, s[82:83]                 // 0000000089CC: D1000041 014B6541
	v_cmp_gt_i32_e64 s[70:71], v33, 2                          // 0000000089D4: D0C40046 00010521
	v_cmp_gt_i32_e64 s[82:83], v33, 3                          // 0000000089DC: D0C40052 00010721
	v_cndmask_b32_e64 v66, v66, v178, s[70:71]                 // 0000000089E4: D1000042 011B6542
	v_cndmask_b32_e64 v67, v67, v178, s[82:83]                 // 0000000089EC: D1000043 014B6543
	s_mov_b32 s61, 64                                          // 0000000089F4: BEBD00C0
	v_add_i32 v33, v32, s61                                    // 0000000089F8: D29C0021 00007B20
	v_cmp_gt_i32_e64 s[70:71], v33, 0                          // 000000008A00: D0C40046 00010121
	v_cmp_gt_i32_e64 s[82:83], v33, 1                          // 000000008A08: D0C40052 00010321
	v_cndmask_b32_e64 v68, v68, v178, s[70:71]                 // 000000008A10: D1000044 011B6544
	v_cndmask_b32_e64 v69, v69, v178, s[82:83]                 // 000000008A18: D1000045 014B6545
	v_cmp_gt_i32_e64 s[70:71], v33, 2                          // 000000008A20: D0C40046 00010521
	v_cmp_gt_i32_e64 s[82:83], v33, 3                          // 000000008A28: D0C40052 00010721
	v_cndmask_b32_e64 v70, v70, v178, s[70:71]                 // 000000008A30: D1000046 011B6546
	v_cndmask_b32_e64 v71, v71, v178, s[82:83]                 // 000000008A38: D1000047 014B6547
	s_mov_b32 s61, 0x80                                        // 000000008A40: BEBD00FF 00000080
	v_add_i32 v33, v32, s61                                    // 000000008A48: D29C0021 00007B20
	v_cmp_gt_i32_e64 s[70:71], v33, 0                          // 000000008A50: D0C40046 00010121
	v_cmp_gt_i32_e64 s[82:83], v33, 1                          // 000000008A58: D0C40052 00010321
	v_cndmask_b32_e64 v72, v72, v178, s[70:71]                 // 000000008A60: D1000048 011B6548
	v_cndmask_b32_e64 v73, v73, v178, s[82:83]                 // 000000008A68: D1000049 014B6549
	v_cmp_gt_i32_e64 s[70:71], v33, 2                          // 000000008A70: D0C40046 00010521
	v_cmp_gt_i32_e64 s[82:83], v33, 3                          // 000000008A78: D0C40052 00010721
	v_cndmask_b32_e64 v74, v74, v178, s[70:71]                 // 000000008A80: D100004A 011B654A
	v_cndmask_b32_e64 v75, v75, v178, s[82:83]                 // 000000008A88: D100004B 014B654B

0000000000008a90 <label_12BF>:
	s_cmp_lt_i32 s84, 0xc0                                     // 000000008A90: BF04FF54 000000C0
	s_cbranch_scc0 label_1338                                  // 000000008A98: BF84006D
	s_cmp_le_i32 s84, 64                                       // 000000008A9C: BF05C054
	s_cbranch_scc1 label_12CB                                  // 000000008AA0: BF850007
	s_cmp_le_i32 s84, 0x80                                     // 000000008AA4: BF05FF54 00000080
	s_cbranch_scc1 label_12EF                                  // 000000008AAC: BF85001F
	s_cmp_lt_i32 s84, 0xc0                                     // 000000008AB0: BF04FF54 000000C0
	s_cbranch_scc1 label_1313                                  // 000000008AB8: BF850040
	s_branch label_1338                                        // 000000008ABC: BF820064

0000000000008ac0 <label_12CB>:
	s_mov_b32 s60, 0                                           // 000000008AC0: BEBC0080
	v_and_b32_e32 v32, 15, v0                                  // 000000008AC4: 2640008F
	v_add_u32_e64 v32, v32, s60                                // 000000008AC8: D1340020 00007920
	v_mul_i32_i24_e64 v33, s46, 16                             // 000000008AD0: D1060021 0001202E
	v_add_u32_e32 v32, v32, v33                                // 000000008AD8: 68404320
	v_cmp_lt_u32_e64 s[60:61], v32, s84                        // 000000008ADC: D0C9003C 0000A920
	s_nop 1                                                    // 000000008AE4: BF800001
	v_cndmask_b32_e64 v52, v178, v52, s[60:61]                 // 000000008AE8: D1000034 00F269B2
	v_cndmask_b32_e64 v64, v178, v64, s[60:61]                 // 000000008AF0: D1000040 00F281B2
	v_cndmask_b32_e64 v53, v178, v53, s[60:61]                 // 000000008AF8: D1000035 00F26BB2
	v_cndmask_b32_e64 v65, v178, v65, s[60:61]                 // 000000008B00: D1000041 00F283B2
	v_cndmask_b32_e64 v54, v178, v54, s[60:61]                 // 000000008B08: D1000036 00F26DB2
	v_cndmask_b32_e64 v66, v178, v66, s[60:61]                 // 000000008B10: D1000042 00F285B2
	v_cndmask_b32_e64 v55, v178, v55, s[60:61]                 // 000000008B18: D1000037 00F26FB2
	v_cndmask_b32_e64 v67, v178, v67, s[60:61]                 // 000000008B20: D1000043 00F287B2
	s_branch label_130A                                        // 000000008B28: BF82001B

0000000000008b2c <label_12EF>:
	s_mov_b32 s60, 64                                          // 000000008B2C: BEBC00C0
	v_and_b32_e32 v32, 15, v0                                  // 000000008B30: 2640008F
	v_add_u32_e64 v32, v32, s60                                // 000000008B34: D1340020 00007920
	v_mul_i32_i24_e64 v33, s46, 16                             // 000000008B3C: D1060021 0001202E
	v_add_u32_e32 v32, v32, v33                                // 000000008B44: 68404320
	v_cmp_lt_u32_e64 s[60:61], v32, s84                        // 000000008B48: D0C9003C 0000A920
	s_nop 1                                                    // 000000008B50: BF800001
	v_cndmask_b32_e64 v56, v178, v56, s[60:61]                 // 000000008B54: D1000038 00F271B2
	v_cndmask_b32_e64 v68, v178, v68, s[60:61]                 // 000000008B5C: D1000044 00F289B2
	v_cndmask_b32_e64 v57, v178, v57, s[60:61]                 // 000000008B64: D1000039 00F273B2
	v_cndmask_b32_e64 v69, v178, v69, s[60:61]                 // 000000008B6C: D1000045 00F28BB2
	v_cndmask_b32_e64 v58, v178, v58, s[60:61]                 // 000000008B74: D100003A 00F275B2
	v_cndmask_b32_e64 v70, v178, v70, s[60:61]                 // 000000008B7C: D1000046 00F28DB2
	v_cndmask_b32_e64 v59, v178, v59, s[60:61]                 // 000000008B84: D100003B 00F277B2
	v_cndmask_b32_e64 v71, v178, v71, s[60:61]                 // 000000008B8C: D1000047 00F28FB2
	s_branch label_132F                                        // 000000008B94: BF820025

0000000000008b98 <label_130A>:
	v_mov_b32_e32 v56, v178                                    // 000000008B98: 7E7003B2
	v_mov_b32_e32 v68, v178                                    // 000000008B9C: 7E8803B2
	v_mov_b32_e32 v57, v178                                    // 000000008BA0: 7E7203B2
	v_mov_b32_e32 v69, v178                                    // 000000008BA4: 7E8A03B2
	v_mov_b32_e32 v58, v178                                    // 000000008BA8: 7E7403B2
	v_mov_b32_e32 v70, v178                                    // 000000008BAC: 7E8C03B2
	v_mov_b32_e32 v59, v178                                    // 000000008BB0: 7E7603B2
	v_mov_b32_e32 v71, v178                                    // 000000008BB4: 7E8E03B2
	s_branch label_132F                                        // 000000008BB8: BF82001C

0000000000008bbc <label_1313>:
	s_mov_b32 s60, 0x80                                        // 000000008BBC: BEBC00FF 00000080
	v_and_b32_e32 v32, 15, v0                                  // 000000008BC4: 2640008F
	v_add_u32_e64 v32, v32, s60                                // 000000008BC8: D1340020 00007920
	v_mul_i32_i24_e64 v33, s46, 16                             // 000000008BD0: D1060021 0001202E
	v_add_u32_e32 v32, v32, v33                                // 000000008BD8: 68404320
	v_cmp_lt_u32_e64 s[60:61], v32, s84                        // 000000008BDC: D0C9003C 0000A920
	s_nop 1                                                    // 000000008BE4: BF800001
	v_cndmask_b32_e64 v60, v178, v60, s[60:61]                 // 000000008BE8: D100003C 00F279B2
	v_cndmask_b32_e64 v72, v178, v72, s[60:61]                 // 000000008BF0: D1000048 00F291B2
	v_cndmask_b32_e64 v61, v178, v61, s[60:61]                 // 000000008BF8: D100003D 00F27BB2
	v_cndmask_b32_e64 v73, v178, v73, s[60:61]                 // 000000008C00: D1000049 00F293B2
	v_cndmask_b32_e64 v62, v178, v62, s[60:61]                 // 000000008C08: D100003E 00F27DB2
	v_cndmask_b32_e64 v74, v178, v74, s[60:61]                 // 000000008C10: D100004A 00F295B2
	v_cndmask_b32_e64 v63, v178, v63, s[60:61]                 // 000000008C18: D100003F 00F27FB2
	v_cndmask_b32_e64 v75, v178, v75, s[60:61]                 // 000000008C20: D100004B 00F297B2
	s_branch label_1338                                        // 000000008C28: BF820009

0000000000008c2c <label_132F>:
	v_mov_b32_e32 v60, v178                                    // 000000008C2C: 7E7803B2
	v_mov_b32_e32 v72, v178                                    // 000000008C30: 7E9003B2
	v_mov_b32_e32 v61, v178                                    // 000000008C34: 7E7A03B2
	v_mov_b32_e32 v73, v178                                    // 000000008C38: 7E9203B2
	v_mov_b32_e32 v62, v178                                    // 000000008C3C: 7E7C03B2
	v_mov_b32_e32 v74, v178                                    // 000000008C40: 7E9403B2
	v_mov_b32_e32 v63, v178                                    // 000000008C44: 7E7E03B2
	v_mov_b32_e32 v75, v178                                    // 000000008C48: 7E9603B2
	s_branch label_1338                                        // 000000008C4C: BF820000

0000000000008c50 <label_1338>:
	s_addk_i32 s74, 0x1                                        // 000000008C50: B74A0001
	s_waitcnt lgkmcnt(8)                                       // 000000008C54: BF8CC87F
	s_barrier                                                  // 000000008C58: BF8A0000
	v_mfma_f32_16x16x16_f16 v[76:79], v[108:109], a[72:73], 0  // 000000008C5C: D3CD004C 1202916C
	v_fma_f32 v52, v52, s57, -v140                             // 000000008C64: D1CB0034 86307334
	v_fma_f32 v53, v53, s57, -v141                             // 000000008C6C: D1CB0035 86347335
	v_fma_f32 v54, v54, s57, -v142                             // 000000008C74: D1CB0036 86387336
	v_fma_f32 v55, v55, s57, -v143                             // 000000008C7C: D1CB0037 863C7337
	v_fma_f32 v56, v56, s57, -v140                             // 000000008C84: D1CB0038 86307338
	v_fma_f32 v57, v57, s57, -v141                             // 000000008C8C: D1CB0039 86347339
	v_mfma_f32_16x16x16_f16 v[76:79], v[110:111], a[74:75], v[76:79]// 000000008C94: D3CD004C 1532956E
	ds_read_b128 a[96:99], v14 offset:4352                     // 000000008C9C: DBFE1100 6000000E
	ds_read_b128 a[100:103], v14 offset:4864                   // 000000008CA4: DBFE1300 6400000E
	v_mfma_f32_16x16x16_f16 v[76:79], v[112:113], a[76:77], v[76:79]// 000000008CAC: D3CD004C 15329970
	v_fma_f32 v58, v58, s57, -v142                             // 000000008CB4: D1CB003A 8638733A
	v_fma_f32 v59, v59, s57, -v143                             // 000000008CBC: D1CB003B 863C733B
	v_fma_f32 v60, v60, s57, -v140                             // 000000008CC4: D1CB003C 8630733C
	v_fma_f32 v61, v61, s57, -v141                             // 000000008CCC: D1CB003D 8634733D
	v_fma_f32 v62, v62, s57, -v142                             // 000000008CD4: D1CB003E 8638733E
	v_fma_f32 v63, v63, s57, -v143                             // 000000008CDC: D1CB003F 863C733F
	v_mfma_f32_16x16x16_f16 v[76:79], v[114:115], a[78:79], v[76:79]// 000000008CE4: D3CD004C 15329D72
	v_fma_f32 v64, v64, s57, -v144                             // 000000008CEC: D1CB0040 86407340
	v_fma_f32 v65, v65, s57, -v145                             // 000000008CF4: D1CB0041 86447341
	v_fma_f32 v66, v66, s57, -v146                             // 000000008CFC: D1CB0042 86487342
	v_fma_f32 v67, v67, s57, -v147                             // 000000008D04: D1CB0043 864C7343
	v_fma_f32 v68, v68, s57, -v144                             // 000000008D0C: D1CB0044 86407344
	v_fma_f32 v69, v69, s57, -v145                             // 000000008D14: D1CB0045 86447345
	v_mfma_f32_16x16x16_f16 v[80:83], v[108:109], a[80:81], 0  // 000000008D1C: D3CD0050 1202A16C
	v_fma_f32 v70, v70, s57, -v146                             // 000000008D24: D1CB0046 86487346
	v_fma_f32 v71, v71, s57, -v147                             // 000000008D2C: D1CB0047 864C7347
	v_fma_f32 v72, v72, s57, -v144                             // 000000008D34: D1CB0048 86407348
	v_fma_f32 v73, v73, s57, -v145                             // 000000008D3C: D1CB0049 86447349
	v_fma_f32 v74, v74, s57, -v146                             // 000000008D44: D1CB004A 8648734A
	v_fma_f32 v75, v75, s57, -v147                             // 000000008D4C: D1CB004B 864C734B
	v_mfma_f32_16x16x16_f16 v[80:83], v[110:111], a[82:83], v[80:83]// 000000008D54: D3CD0050 1542A56E
	ds_read_b128 a[104:107], v14 offset:6528                   // 000000008D5C: DBFE1980 6800000E
	ds_read_b128 a[108:111], v14 offset:7040                   // 000000008D64: DBFE1B80 6C00000E
	v_mfma_f32_16x16x16_f16 v[80:83], v[112:113], a[84:85], v[80:83]// 000000008D6C: D3CD0050 1542A970
	v_exp_f32_e32 v52, v52                                     // 000000008D74: 7E684134
	v_exp_f32_e32 v53, v53                                     // 000000008D78: 7E6A4135
	v_mfma_f32_16x16x16_f16 v[80:83], v[114:115], a[86:87], v[80:83]// 000000008D7C: D3CD0050 1542AD72
	v_exp_f32_e32 v54, v54                                     // 000000008D84: 7E6C4136
	v_exp_f32_e32 v55, v55                                     // 000000008D88: 7E6E4137
	v_mfma_f32_16x16x16_f16 v[84:87], v[108:109], a[88:89], 0  // 000000008D8C: D3CD0054 1202B16C
	v_exp_f32_e32 v56, v56                                     // 000000008D94: 7E704138
	v_exp_f32_e32 v57, v57                                     // 000000008D98: 7E724139
	v_mfma_f32_16x16x16_f16 v[84:87], v[110:111], a[90:91], v[84:87]// 000000008D9C: D3CD0054 1552B56E
	ds_read_b64 v[156:157], v21 offset:31232                   // 000000008DA4: D8EC7A00 9C000015
	ds_read_b64 v[158:159], v21 offset:33280                   // 000000008DAC: D8EC8200 9E000015
	v_mfma_f32_16x16x16_f16 v[84:87], v[112:113], a[92:93], v[84:87]// 000000008DB4: D3CD0054 1552B970
	v_exp_f32_e32 v58, v58                                     // 000000008DBC: 7E74413A
	v_exp_f32_e32 v59, v59                                     // 000000008DC0: 7E76413B
	v_mfma_f32_16x16x16_f16 v[84:87], v[114:115], a[94:95], v[84:87]// 000000008DC4: D3CD0054 1552BD72
	ds_read_b64 v[160:161], v21 offset:35328                   // 000000008DCC: D8EC8A00 A0000015
	ds_read_b64 v[162:163], v21 offset:37376                   // 000000008DD4: D8EC9200 A2000015
	v_mfma_f32_16x16x16_f16 v[88:91], v[116:117], a[72:73], 0  // 000000008DDC: D3CD0058 12029174
	v_exp_f32_e32 v60, v60                                     // 000000008DE4: 7E78413C
	v_exp_f32_e32 v61, v61                                     // 000000008DE8: 7E7A413D
	v_mfma_f32_16x16x16_f16 v[88:91], v[118:119], a[74:75], v[88:91]// 000000008DEC: D3CD0058 15629576
	v_exp_f32_e32 v62, v62                                     // 000000008DF4: 7E7C413E
	v_exp_f32_e32 v63, v63                                     // 000000008DF8: 7E7E413F
	v_mfma_f32_16x16x16_f16 v[88:91], v[120:121], a[76:77], v[88:91]// 000000008DFC: D3CD0058 15629978
	v_exp_f32_e32 v64, v64                                     // 000000008E04: 7E804140
	v_exp_f32_e32 v65, v65                                     // 000000008E08: 7E824141
	v_mfma_f32_16x16x16_f16 v[88:91], v[122:123], a[78:79], v[88:91]// 000000008E0C: D3CD0058 15629D7A
	v_exp_f32_e32 v66, v66                                     // 000000008E14: 7E844142
	v_exp_f32_e32 v67, v67                                     // 000000008E18: 7E864143
	v_mfma_f32_16x16x16_f16 v[92:95], v[116:117], a[80:81], 0  // 000000008E1C: D3CD005C 1202A174
	v_exp_f32_e32 v68, v68                                     // 000000008E24: 7E884144
	v_exp_f32_e32 v69, v69                                     // 000000008E28: 7E8A4145
	v_mfma_f32_16x16x16_f16 v[92:95], v[118:119], a[82:83], v[92:95]// 000000008E2C: D3CD005C 1572A576
	v_exp_f32_e32 v70, v70                                     // 000000008E34: 7E8C4146
	v_exp_f32_e32 v71, v71                                     // 000000008E38: 7E8E4147
	v_mfma_f32_16x16x16_f16 v[92:95], v[120:121], a[84:85], v[92:95]// 000000008E3C: D3CD005C 1572A978
	v_exp_f32_e32 v72, v72                                     // 000000008E44: 7E904148
	v_exp_f32_e32 v73, v73                                     // 000000008E48: 7E924149
	v_mfma_f32_16x16x16_f16 v[92:95], v[122:123], a[86:87], v[92:95]// 000000008E4C: D3CD005C 1572AD7A
	v_exp_f32_e32 v74, v74                                     // 000000008E54: 7E94414A
	v_exp_f32_e32 v75, v75                                     // 000000008E58: 7E96414B
	v_mfma_f32_16x16x16_f16 v[96:99], v[116:117], a[88:89], 0  // 000000008E5C: D3CD0060 1202B174
	v_cvt_pkrtz_f16_f32 v164, v52, v53                         // 000000008E64: D29600A4 00026B34
	v_cvt_pkrtz_f16_f32 v165, v54, v55                         // 000000008E6C: D29600A5 00026F36
	v_cvt_pkrtz_f16_f32 v166, v56, v57                         // 000000008E74: D29600A6 00027338
	v_cvt_pkrtz_f16_f32 v167, v58, v59                         // 000000008E7C: D29600A7 0002773A
	v_cvt_pkrtz_f16_f32 v168, v60, v61                         // 000000008E84: D29600A8 00027B3C
	v_cvt_pkrtz_f16_f32 v169, v62, v63                         // 000000008E8C: D29600A9 00027F3E
	v_mfma_f32_16x16x16_f16 v[96:99], v[118:119], a[90:91], v[96:99]// 000000008E94: D3CD0060 1582B576
	v_cvt_pkrtz_f16_f32 v170, v64, v65                         // 000000008E9C: D29600AA 00028340
	v_cvt_pkrtz_f16_f32 v171, v66, v67                         // 000000008EA4: D29600AB 00028742
	v_cvt_pkrtz_f16_f32 v172, v68, v69                         // 000000008EAC: D29600AC 00028B44
	v_cvt_pkrtz_f16_f32 v173, v70, v71                         // 000000008EB4: D29600AD 00028F46
	v_cvt_pkrtz_f16_f32 v174, v72, v73                         // 000000008EBC: D29600AE 00029348
	v_cvt_pkrtz_f16_f32 v175, v74, v75                         // 000000008EC4: D29600AF 0002974A
	v_mfma_f32_16x16x16_f16 v[96:99], v[120:121], a[92:93], v[96:99]// 000000008ECC: D3CD0060 1582B978
	v_add_u32_e32 v6, s66, v6                                  // 000000008ED4: 680C0C42
	v_add_u32_e32 v7, s66, v7                                  // 000000008ED8: 680E0E42
	v_add_u32_e32 v8, s66, v8                                  // 000000008EDC: 68101042
	v_add_u32_e32 v9, s66, v9                                  // 000000008EE0: 68121242
	v_mfma_f32_16x16x16_f16 v[96:99], v[122:123], a[94:95], v[96:99]// 000000008EE4: D3CD0060 1582BD7A
	s_waitcnt lgkmcnt(0)                                       // 000000008EEC: BF8CC07F
	s_barrier                                                  // 000000008EF0: BF8A0000
	v_mfma_f32_16x16x16_f16 v[180:183], v[124:125], v[164:165], v[180:183]// 000000008EF4: D3CD00B4 06D3497C
	v_subrev_f32_dpp v76, v176, v76 quad_perm:[0,0,0,0] row_mask:0xf bank_mask:0xf// 000000008EFC: 069898FA FF0000B0
	v_subrev_f32_dpp v77, v176, v77 quad_perm:[1,1,1,1] row_mask:0xf bank_mask:0xf// 000000008F04: 069A9AFA FF0055B0
	v_subrev_f32_dpp v78, v176, v78 quad_perm:[2,2,2,2] row_mask:0xf bank_mask:0xf// 000000008F0C: 069C9CFA FF00AAB0
	v_subrev_f32_dpp v79, v176, v79 quad_perm:[3,3,3,3] row_mask:0xf bank_mask:0xf// 000000008F14: 069E9EFA FF00FFB0
	v_subrev_f32_dpp v80, v176, v80 quad_perm:[0,0,0,0] row_mask:0xf bank_mask:0xf// 000000008F1C: 06A0A0FA FF0000B0
	v_subrev_f32_dpp v81, v176, v81 quad_perm:[1,1,1,1] row_mask:0xf bank_mask:0xf// 000000008F24: 06A2A2FA FF0055B0
	v_mfma_f32_16x16x16_f16 v[184:187], v[126:127], v[164:165], v[184:187]// 000000008F2C: D3CD00B8 06E3497E
	v_subrev_f32_dpp v82, v176, v82 quad_perm:[2,2,2,2] row_mask:0xf bank_mask:0xf// 000000008F34: 06A4A4FA FF00AAB0
	v_subrev_f32_dpp v83, v176, v83 quad_perm:[3,3,3,3] row_mask:0xf bank_mask:0xf// 000000008F3C: 06A6A6FA FF00FFB0
	v_subrev_f32_dpp v84, v176, v84 quad_perm:[0,0,0,0] row_mask:0xf bank_mask:0xf// 000000008F44: 06A8A8FA FF0000B0
	v_subrev_f32_dpp v85, v176, v85 quad_perm:[1,1,1,1] row_mask:0xf bank_mask:0xf// 000000008F4C: 06AAAAFA FF0055B0
	v_subrev_f32_dpp v86, v176, v86 quad_perm:[2,2,2,2] row_mask:0xf bank_mask:0xf// 000000008F54: 06ACACFA FF00AAB0
	v_subrev_f32_dpp v87, v176, v87 quad_perm:[3,3,3,3] row_mask:0xf bank_mask:0xf// 000000008F5C: 06AEAEFA FF00FFB0
	v_mfma_f32_16x16x16_f16 v[188:191], v[128:129], v[164:165], v[188:191]// 000000008F64: D3CD00BC 06F34980
	v_mul_f32_e32 v76, v52, v76                                // 000000008F6C: 0A989934
	v_mul_f32_e32 v77, v53, v77                                // 000000008F70: 0A9A9B35
	v_mul_f32_e32 v78, v54, v78                                // 000000008F74: 0A9C9D36
	v_mul_f32_e32 v79, v55, v79                                // 000000008F78: 0A9E9F37
	v_mul_f32_e32 v80, v56, v80                                // 000000008F7C: 0AA0A138
	v_mul_f32_e32 v81, v57, v81                                // 000000008F80: 0AA2A339
	v_mfma_f32_16x16x16_f16 v[192:195], v[130:131], v[164:165], v[192:195]// 000000008F84: D3CD00C0 07034982
	v_mul_f32_e32 v82, v58, v82                                // 000000008F8C: 0AA4A53A
	v_mul_f32_e32 v83, v59, v83                                // 000000008F90: 0AA6A73B
	v_mul_f32_e32 v84, v60, v84                                // 000000008F94: 0AA8A93C
	v_mul_f32_e32 v85, v61, v85                                // 000000008F98: 0AAAAB3D
	v_mul_f32_e32 v86, v62, v86                                // 000000008F9C: 0AACAD3E
	v_mul_f32_e32 v87, v63, v87                                // 000000008FA0: 0AAEAF3F
	v_mfma_f32_16x16x16_f16 v[196:199], v[124:125], v[166:167], v[196:199]// 000000008FA4: D3CD00C4 07134D7C
	v_cvt_pkrtz_f16_f32 v76, v76, v77                          // 000000008FAC: D296004C 00029B4C
	v_cvt_pkrtz_f16_f32 v77, v78, v79                          // 000000008FB4: D296004D 00029F4E
	v_cvt_pkrtz_f16_f32 v78, v80, v81                          // 000000008FBC: D296004E 0002A350
	v_cvt_pkrtz_f16_f32 v79, v82, v83                          // 000000008FC4: D296004F 0002A752
	v_cvt_pkrtz_f16_f32 v80, v84, v85                          // 000000008FCC: D2960050 0002AB54
	v_cvt_pkrtz_f16_f32 v81, v86, v87                          // 000000008FD4: D2960051 0002AF56
	v_mfma_f32_16x16x16_f16 v[200:203], v[126:127], v[166:167], v[200:203]// 000000008FDC: D3CD00C8 07234D7E
	v_mov_b32_dpp v18, v76 quad_perm:[1,0,3,2] row_mask:0xf bank_mask:0xf// 000000008FE4: 7E2402FA FF00B14C
	v_perm_b32 v52, v18, v76, v17                              // 000000008FEC: D1ED0034 04469912
	v_mov_b32_dpp v18, v77 quad_perm:[1,0,3,2] row_mask:0xf bank_mask:0xf// 000000008FF4: 7E2402FA FF00B14D
	v_perm_b32 v53, v18, v77, v17                              // 000000008FFC: D1ED0035 04469B12
	v_mov_b32_dpp v18, v78 quad_perm:[1,0,3,2] row_mask:0xf bank_mask:0xf// 000000009004: 7E2402FA FF00B14E
	v_perm_b32 v54, v18, v78, v17                              // 00000000900C: D1ED0036 04469D12
	v_mfma_f32_16x16x16_f16 v[204:207], v[128:129], v[166:167], v[204:207]// 000000009014: D3CD00CC 07334D80
	ds_write_b32 v20, v52 offset:17408                         // 00000000901C: D81A4400 00003414
	ds_write_b32 v20, v53 offset:17952                         // 000000009024: D81A4620 00003514
	v_mfma_f32_16x16x16_f16 v[208:211], v[130:131], v[166:167], v[208:211]// 00000000902C: D3CD00D0 07434D82
	v_mov_b32_dpp v18, v79 quad_perm:[1,0,3,2] row_mask:0xf bank_mask:0xf// 000000009034: 7E2402FA FF00B14F
	v_perm_b32 v55, v18, v79, v17                              // 00000000903C: D1ED0037 04469F12
	v_mov_b32_dpp v18, v80 quad_perm:[1,0,3,2] row_mask:0xf bank_mask:0xf// 000000009044: 7E2402FA FF00B150
	v_perm_b32 v56, v18, v80, v17                              // 00000000904C: D1ED0038 0446A112
	v_mov_b32_dpp v18, v81 quad_perm:[1,0,3,2] row_mask:0xf bank_mask:0xf// 000000009054: 7E2402FA FF00B151
	v_perm_b32 v57, v18, v81, v17                              // 00000000905C: D1ED0039 0446A312
	v_mfma_f32_16x16x16_f16 v[212:215], v[124:125], v[168:169], v[212:215]// 000000009064: D3CD00D4 0753517C
	ds_write_b32 v20, v54 offset:19712                         // 00000000906C: D81A4D00 00003614
	ds_write_b32 v20, v55 offset:20256                         // 000000009074: D81A4F20 00003714
	v_mfma_f32_16x16x16_f16 v[216:219], v[126:127], v[168:169], v[216:219]// 00000000907C: D3CD00D8 0763517E
	v_subrev_f32_dpp v88, v177, v88 quad_perm:[0,0,0,0] row_mask:0xf bank_mask:0xf// 000000009084: 06B0B0FA FF0000B1
	v_subrev_f32_dpp v89, v177, v89 quad_perm:[1,1,1,1] row_mask:0xf bank_mask:0xf// 00000000908C: 06B2B2FA FF0055B1
	v_subrev_f32_dpp v90, v177, v90 quad_perm:[2,2,2,2] row_mask:0xf bank_mask:0xf// 000000009094: 06B4B4FA FF00AAB1
	v_subrev_f32_dpp v91, v177, v91 quad_perm:[3,3,3,3] row_mask:0xf bank_mask:0xf// 00000000909C: 06B6B6FA FF00FFB1
	v_subrev_f32_dpp v92, v177, v92 quad_perm:[0,0,0,0] row_mask:0xf bank_mask:0xf// 0000000090A4: 06B8B8FA FF0000B1
	v_subrev_f32_dpp v93, v177, v93 quad_perm:[1,1,1,1] row_mask:0xf bank_mask:0xf// 0000000090AC: 06BABAFA FF0055B1
	v_mfma_f32_16x16x16_f16 v[220:223], v[128:129], v[168:169], v[220:223]// 0000000090B4: D3CD00DC 07735180
	ds_write_b32 v20, v56 offset:22016                         // 0000000090BC: D81A5600 00003814
	ds_write_b32 v20, v57 offset:22560                         // 0000000090C4: D81A5820 00003914
	v_mfma_f32_16x16x16_f16 v[224:227], v[130:131], v[168:169], v[224:227]// 0000000090CC: D3CD00E0 07835182
	v_subrev_f32_dpp v94, v177, v94 quad_perm:[2,2,2,2] row_mask:0xf bank_mask:0xf// 0000000090D4: 06BCBCFA FF00AAB1
	v_subrev_f32_dpp v95, v177, v95 quad_perm:[3,3,3,3] row_mask:0xf bank_mask:0xf// 0000000090DC: 06BEBEFA FF00FFB1
	v_subrev_f32_dpp v96, v177, v96 quad_perm:[0,0,0,0] row_mask:0xf bank_mask:0xf// 0000000090E4: 06C0C0FA FF0000B1
	v_subrev_f32_dpp v97, v177, v97 quad_perm:[1,1,1,1] row_mask:0xf bank_mask:0xf// 0000000090EC: 06C2C2FA FF0055B1
	v_subrev_f32_dpp v98, v177, v98 quad_perm:[2,2,2,2] row_mask:0xf bank_mask:0xf// 0000000090F4: 06C4C4FA FF00AAB1
	v_subrev_f32_dpp v99, v177, v99 quad_perm:[3,3,3,3] row_mask:0xf bank_mask:0xf// 0000000090FC: 06C6C6FA FF00FFB1
	v_mfma_f32_16x16x16_f16 v[180:183], v[132:133], v[170:171], v[180:183]// 000000009104: D3CD00B4 06D35584
	v_mul_f32_e32 v88, v64, v88                                // 00000000910C: 0AB0B140
	v_mul_f32_e32 v89, v65, v89                                // 000000009110: 0AB2B341
	v_mul_f32_e32 v90, v66, v90                                // 000000009114: 0AB4B542
	v_mul_f32_e32 v91, v67, v91                                // 000000009118: 0AB6B743
	v_mul_f32_e32 v92, v68, v92                                // 00000000911C: 0AB8B944
	v_mul_f32_e32 v93, v69, v93                                // 000000009120: 0ABABB45
	v_mfma_f32_16x16x16_f16 v[184:187], v[134:135], v[170:171], v[184:187]// 000000009124: D3CD00B8 06E35586
	v_mul_f32_e32 v94, v70, v94                                // 00000000912C: 0ABCBD46
	v_mul_f32_e32 v95, v71, v95                                // 000000009130: 0ABEBF47
	v_mul_f32_e32 v96, v72, v96                                // 000000009134: 0AC0C148
	v_mul_f32_e32 v97, v73, v97                                // 000000009138: 0AC2C349
	v_mul_f32_e32 v98, v74, v98                                // 00000000913C: 0AC4C54A
	v_mul_f32_e32 v99, v75, v99                                // 000000009140: 0AC6C74B
	v_mfma_f32_16x16x16_f16 v[188:191], v[136:137], v[170:171], v[188:191]// 000000009144: D3CD00BC 06F35588
	v_cvt_pkrtz_f16_f32 v82, v88, v89                          // 00000000914C: D2960052 0002B358
	v_cvt_pkrtz_f16_f32 v83, v90, v91                          // 000000009154: D2960053 0002B75A
	v_cvt_pkrtz_f16_f32 v84, v92, v93                          // 00000000915C: D2960054 0002BB5C
	v_cvt_pkrtz_f16_f32 v85, v94, v95                          // 000000009164: D2960055 0002BF5E
	v_cvt_pkrtz_f16_f32 v86, v96, v97                          // 00000000916C: D2960056 0002C360
	v_cvt_pkrtz_f16_f32 v87, v98, v99                          // 000000009174: D2960057 0002C762
	v_mfma_f32_16x16x16_f16 v[192:195], v[138:139], v[170:171], v[192:195]// 00000000917C: D3CD00C0 0703558A
	v_mov_b32_dpp v18, v82 quad_perm:[1,0,3,2] row_mask:0xf bank_mask:0xf// 000000009184: 7E2402FA FF00B152
	v_perm_b32 v58, v18, v82, v17                              // 00000000918C: D1ED003A 0446A512
	v_mov_b32_dpp v18, v83 quad_perm:[1,0,3,2] row_mask:0xf bank_mask:0xf// 000000009194: 7E2402FA FF00B153
	v_perm_b32 v59, v18, v83, v17                              // 00000000919C: D1ED003B 0446A712
	v_mov_b32_dpp v18, v84 quad_perm:[1,0,3,2] row_mask:0xf bank_mask:0xf// 0000000091A4: 7E2402FA FF00B154
	v_perm_b32 v60, v18, v84, v17                              // 0000000091AC: D1ED003C 0446A912
	v_mfma_f32_16x16x16_f16 v[196:199], v[132:133], v[172:173], v[196:199]// 0000000091B4: D3CD00C4 07135984
	ds_write_b32 v20, v58 offset:24320                         // 0000000091BC: D81A5F00 00003A14
	ds_write_b32 v20, v59 offset:24864                         // 0000000091C4: D81A6120 00003B14
	v_mfma_f32_16x16x16_f16 v[200:203], v[134:135], v[172:173], v[200:203]// 0000000091CC: D3CD00C8 07235986
	v_mov_b32_dpp v18, v85 quad_perm:[1,0,3,2] row_mask:0xf bank_mask:0xf// 0000000091D4: 7E2402FA FF00B155
	v_perm_b32 v61, v18, v85, v17                              // 0000000091DC: D1ED003D 0446AB12
	v_mov_b32_dpp v18, v86 quad_perm:[1,0,3,2] row_mask:0xf bank_mask:0xf// 0000000091E4: 7E2402FA FF00B156
	v_perm_b32 v62, v18, v86, v17                              // 0000000091EC: D1ED003E 0446AD12
	v_mov_b32_dpp v18, v87 quad_perm:[1,0,3,2] row_mask:0xf bank_mask:0xf// 0000000091F4: 7E2402FA FF00B157
	v_perm_b32 v63, v18, v87, v17                              // 0000000091FC: D1ED003F 0446AF12
	v_mfma_f32_16x16x16_f16 v[204:207], v[136:137], v[172:173], v[204:207]// 000000009204: D3CD00CC 07335988
	ds_write_b32 v20, v60 offset:26624                         // 00000000920C: D81A6800 00003C14
	ds_write_b32 v20, v61 offset:27168                         // 000000009214: D81A6A20 00003D14
	ds_write_b32 v20, v62 offset:28928                         // 00000000921C: D81A7100 00003E14
	ds_write_b32 v20, v63 offset:29472                         // 000000009224: D81A7320 00003F14
	v_mfma_f32_16x16x16_f16 v[208:211], v[138:139], v[172:173], v[208:211]// 00000000922C: D3CD00D0 0743598A
	v_mfma_f32_16x16x16_f16 v[212:215], v[132:133], v[174:175], v[212:215]// 000000009234: D3CD00D4 07535D84
	ds_write_b32 v15, v100 offset:4352                         // 00000000923C: D81A1100 0000640F
	ds_write_b32 v15, v101 offset:5408                         // 000000009244: D81A1520 0000650F
	v_mfma_f32_16x16x16_f16 v[216:219], v[134:135], v[174:175], v[216:219]// 00000000924C: D3CD00D8 07635D86
	v_mfma_f32_16x16x16_f16 v[220:223], v[136:137], v[174:175], v[220:223]// 000000009254: D3CD00DC 07735D88
	ds_write_b32 v15, v102 offset:6528                         // 00000000925C: D81A1980 0000660F
	ds_write_b32 v15, v103 offset:7584                         // 000000009264: D81A1DA0 0000670F
	v_mfma_f32_16x16x16_f16 v[224:227], v[138:139], v[174:175], v[224:227]// 00000000926C: D3CD00E0 07835D8A
	s_nop 0                                                    // 000000009274: BF800000
	s_nop 0                                                    // 000000009278: BF800000
	s_nop 0                                                    // 00000000927C: BF800000
	s_barrier                                                  // 000000009280: BF8A0000
	v_mfma_f32_16x16x16_f16 a[112:115], a[96:97], v[76:77], a[112:115]// 000000009284: D3CD8070 0DC29960
	ds_read_b32 v140, v23 offset:39424                         // 00000000928C: D86C9A00 8C000017
	ds_read_b32 v144, v23 offset:39488                         // 000000009294: D86C9A40 90000017
	ds_read_b32 v176, v23 offset:39680                         // 00000000929C: D86C9B00 B0000017
	ds_read_b32 v177, v23 offset:39744                         // 0000000092A4: D86C9B40 B1000017
	v_mfma_f32_16x16x16_f16 a[116:119], a[98:99], v[76:77], a[116:119]// 0000000092AC: D3CD8074 0DD29962
	buffer_atomic_add_f32 v156, v6, s[32:35], 0 idxen          // 0000000092B4: E1342000 80089C06
	v_mfma_f32_16x16x16_f16 a[120:123], a[100:101], v[76:77], a[120:123]// 0000000092BC: D3CD8078 0DE29964
	s_waitcnt lgkmcnt(8)                                       // 0000000092C4: BF8CC87F
	s_barrier                                                  // 0000000092C8: BF8A0000
	v_mfma_f32_16x16x16_f16 a[124:127], a[102:103], v[76:77], a[124:127]// 0000000092CC: D3CD807C 0DF29966
	v_mfma_f32_16x16x16_f16 a[128:131], a[96:97], v[78:79], a[128:131]// 0000000092D4: D3CD8080 0E029D60
	ds_read_b128 v[52:55], v19 offset:17408                    // 0000000092DC: D9FE4400 34000013
	v_mfma_f32_16x16x16_f16 a[132:135], a[98:99], v[78:79], a[132:135]// 0000000092E4: D3CD8084 0E129D62
	v_mfma_f32_16x16x16_f16 a[136:139], a[100:101], v[78:79], a[136:139]// 0000000092EC: D3CD8088 0E229D64
	ds_read_b128 v[56:59], v19 offset:18560                    // 0000000092F4: D9FE4880 38000013
	v_mfma_f32_16x16x16_f16 a[140:143], a[102:103], v[78:79], a[140:143]// 0000000092FC: D3CD808C 0E329D66
	buffer_atomic_add_f32 v157, v7, s[32:35], 0 idxen          // 000000009304: E1342000 80089D07
	v_mfma_f32_16x16x16_f16 a[144:147], a[96:97], v[80:81], a[144:147]// 00000000930C: D3CD8090 0E42A160
	ds_read_b128 v[60:63], v19 offset:19712                    // 000000009314: D9FE4D00 3C000013
	v_mfma_f32_16x16x16_f16 a[148:151], a[98:99], v[80:81], a[148:151]// 00000000931C: D3CD8094 0E52A162
	v_mfma_f32_16x16x16_f16 a[152:155], a[100:101], v[80:81], a[152:155]// 000000009324: D3CD8098 0E62A164
	ds_read_b128 v[64:67], v19 offset:20864                    // 00000000932C: D9FE5180 40000013
	v_mfma_f32_16x16x16_f16 a[156:159], a[102:103], v[80:81], a[156:159]// 000000009334: D3CD809C 0E72A166
	v_mfma_f32_16x16x16_f16 a[112:115], a[104:105], v[82:83], a[112:115]// 00000000933C: D3CD8070 0DC2A568
	ds_read_b128 v[68:71], v19 offset:22016                    // 000000009344: D9FE5600 44000013
	v_mfma_f32_16x16x16_f16 a[116:119], a[106:107], v[82:83], a[116:119]// 00000000934C: D3CD8074 0DD2A56A
	buffer_atomic_add_f32 v158, v6, s[32:35], 0 idxen offset:128// 000000009354: E1342080 80089E06
	v_mfma_f32_16x16x16_f16 a[120:123], a[108:109], v[82:83], a[120:123]// 00000000935C: D3CD8078 0DE2A56C
	ds_read_b128 v[72:75], v19 offset:23168                    // 000000009364: D9FE5A80 48000013
	v_mfma_f32_16x16x16_f16 a[124:127], a[110:111], v[82:83], a[124:127]// 00000000936C: D3CD807C 0DF2A56E
	v_mfma_f32_16x16x16_f16 a[128:131], a[104:105], v[84:85], a[128:131]// 000000009374: D3CD8080 0E02A968
	ds_write_b32 v15, v104 offset:13056                        // 00000000937C: D81A3300 0000680F
	v_mfma_f32_16x16x16_f16 a[132:135], a[106:107], v[84:85], a[132:135]// 000000009384: D3CD8084 0E12A96A
	v_mfma_f32_16x16x16_f16 a[136:139], a[108:109], v[84:85], a[136:139]// 00000000938C: D3CD8088 0E22A96C
	ds_write_b32 v15, v105 offset:14112                        // 000000009394: D81A3720 0000690F
	v_mfma_f32_16x16x16_f16 a[140:143], a[110:111], v[84:85], a[140:143]// 00000000939C: D3CD808C 0E32A96E
	buffer_atomic_add_f32 v159, v7, s[32:35], 0 idxen offset:128// 0000000093A4: E1342080 80089F07
	v_mfma_f32_16x16x16_f16 a[144:147], a[104:105], v[86:87], a[144:147]// 0000000093AC: D3CD8090 0E42AD68
	ds_write_b32 v15, v106 offset:15232                        // 0000000093B4: D81A3B80 00006A0F
	v_mfma_f32_16x16x16_f16 a[148:151], a[106:107], v[86:87], a[148:151]// 0000000093BC: D3CD8094 0E52AD6A
	v_mfma_f32_16x16x16_f16 a[152:155], a[108:109], v[86:87], a[152:155]// 0000000093C4: D3CD8098 0E62AD6C
	ds_write_b32 v15, v107 offset:16288                        // 0000000093CC: D81A3FA0 00006B0F
	v_mfma_f32_16x16x16_f16 a[156:159], a[110:111], v[86:87], a[156:159]// 0000000093D4: D3CD809C 0E72AD6E
	s_waitcnt vmcnt(8) lgkmcnt(4)                              // 0000000093DC: BF8C0478
	s_barrier                                                  // 0000000093E0: BF8A0000
	v_mfma_f32_16x16x16_f16 v[148:151], v[52:53], a[24:25], 0  // 0000000093E4: D3CD0094 12023134
	ds_read_b128 a[96:99], v12                                 // 0000000093EC: DBFE0000 6000000C
	buffer_load_dword v36, v1, s[8:11], 0 idxen                // 0000000093F4: E0502000 80022401
	v_mfma_f32_16x16x16_f16 v[148:151], v[54:55], a[28:29], v[148:151]// 0000000093FC: D3CD0094 16523936
	v_mul_f32_e32 v140, s48, v140                              // 000000009404: 0B191830
	v_mul_f32_e32 v144, s48, v144                              // 000000009408: 0B212030
	s_nop 0                                                    // 00000000940C: BF800000
	v_mfma_f32_16x16x16_f16 v[148:151], v[56:57], a[32:33], v[148:151]// 000000009410: D3CD0094 16524138
	ds_read_b128 a[100:103], v12 offset:512                    // 000000009418: DBFE0200 6400000C
	buffer_load_dword v37, v2, s[8:11], 0 idxen                // 000000009420: E0502000 80022502
	v_mfma_f32_16x16x16_f16 v[148:151], v[58:59], a[36:37], v[148:151]// 000000009428: D3CD0094 1652493A
	v_mfma_f32_16x16x16_f16 v[148:151], v[60:61], a[40:41], v[148:151]// 000000009430: D3CD0094 1652513C
	ds_read_b128 a[104:107], v12 offset:2176                   // 000000009438: DBFE0880 6800000C
	buffer_load_dword v38, v3, s[8:11], 0 idxen                // 000000009440: E0502000 80022603
	v_mfma_f32_16x16x16_f16 v[148:151], v[62:63], a[44:45], v[148:151]// 000000009448: D3CD0094 1652593E
	v_perm_b32 v100, v41, v40, s63                             // 000000009450: D1ED0064 00FE5129
	v_perm_b32 v101, v41, v40, s64                             // 000000009458: D1ED0065 01025129
	v_mfma_f32_16x16x16_f16 v[148:151], v[64:65], a[48:49], v[148:151]// 000000009460: D3CD0094 16526140
	ds_read_b128 a[108:111], v12 offset:2688                   // 000000009468: DBFE0A80 6C00000C
	buffer_load_dword v39, v4, s[8:11], 0 idxen                // 000000009470: E0502000 80022704
	v_mfma_f32_16x16x16_f16 v[148:151], v[66:67], a[52:53], v[148:151]// 000000009478: D3CD0094 16526942
	v_perm_b32 v102, v43, v42, s63                             // 000000009480: D1ED0066 00FE552B
	v_perm_b32 v103, v43, v42, s64                             // 000000009488: D1ED0067 0102552B
	v_mfma_f32_16x16x16_f16 v[148:151], v[68:69], a[56:57], v[148:151]// 000000009490: D3CD0094 16527144
	ds_read_b128 v[108:111], v12 offset:8704                   // 000000009498: D9FE2200 6C00000C
	buffer_load_dword v44, v228, s[20:23], 0 idxen             // 0000000094A0: E0502000 80052CE4
	v_mfma_f32_16x16x16_f16 v[148:151], v[70:71], a[60:61], v[148:151]// 0000000094A8: D3CD0094 16527946
	v_perm_b32 v104, v49, v48, s63                             // 0000000094B0: D1ED0068 00FE6131
	v_perm_b32 v105, v49, v48, s64                             // 0000000094B8: D1ED0069 01026131
	v_mfma_f32_16x16x16_f16 v[148:151], v[72:73], a[64:65], v[148:151]// 0000000094C0: D3CD0094 16528148
	ds_read_b128 v[112:115], v12 offset:9216                   // 0000000094C8: D9FE2400 7000000C
	buffer_load_dword v45, v229, s[20:23], 0 idxen             // 0000000094D0: E0502000 80052DE5
	v_mfma_f32_16x16x16_f16 v[148:151], v[74:75], a[68:69], v[148:151]// 0000000094D8: D3CD0094 1652894A
	v_perm_b32 v106, v51, v50, s63                             // 0000000094E0: D1ED006A 00FE6533
	v_perm_b32 v107, v51, v50, s64                             // 0000000094E8: D1ED006B 01026533
	v_mfma_f32_16x16x16_f16 v[152:155], v[52:53], a[26:27], 0  // 0000000094F0: D3CD0098 12023534
	ds_read_b128 v[116:119], v12 offset:10880                  // 0000000094F8: D9FE2A80 7400000C
	buffer_load_dword v46, v230, s[20:23], 0 idxen             // 000000009500: E0502000 80052EE6
	v_mfma_f32_16x16x16_f16 v[152:155], v[54:55], a[30:31], v[152:155]// 000000009508: D3CD0098 16623D36
	v_mov_b32_dpp v143, v140 quad_perm:[3,3,3,3] row_mask:0xf bank_mask:0xf// 000000009510: 7F1E02FA FF00FF8C
	v_mov_b32_dpp v142, v140 quad_perm:[2,2,2,2] row_mask:0xf bank_mask:0xf// 000000009518: 7F1C02FA FF00AA8C
	v_mov_b32_dpp v141, v140 quad_perm:[1,1,1,1] row_mask:0xf bank_mask:0xf// 000000009520: 7F1A02FA FF00558C
	v_mov_b32_dpp v140, v140 quad_perm:[0,0,0,0] row_mask:0xf bank_mask:0xf// 000000009528: 7F1802FA FF00008C
	v_mfma_f32_16x16x16_f16 v[152:155], v[56:57], a[34:35], v[152:155]// 000000009530: D3CD0098 16624538
	ds_read_b128 v[120:123], v12 offset:11392                  // 000000009538: D9FE2C80 7800000C
	buffer_load_dword v47, v231, s[20:23], 0 idxen             // 000000009540: E0502000 80052FE7
	v_mfma_f32_16x16x16_f16 v[152:155], v[58:59], a[38:39], v[152:155]// 000000009548: D3CD0098 16624D3A
	v_mov_b32_dpp v147, v144 quad_perm:[3,3,3,3] row_mask:0xf bank_mask:0xf// 000000009550: 7F2602FA FF00FF90
	v_mov_b32_dpp v146, v144 quad_perm:[2,2,2,2] row_mask:0xf bank_mask:0xf// 000000009558: 7F2402FA FF00AA90
	v_mov_b32_dpp v145, v144 quad_perm:[1,1,1,1] row_mask:0xf bank_mask:0xf// 000000009560: 7F2202FA FF005590
	v_mov_b32_dpp v144, v144 quad_perm:[0,0,0,0] row_mask:0xf bank_mask:0xf// 000000009568: 7F2002FA FF000090
	s_add_u32 s60, 0x80, s59                                   // 000000009570: 803C3BFF 00000080
	v_mfma_f32_16x16x16_f16 v[152:155], v[60:61], a[42:43], v[152:155]// 000000009578: D3CD0098 1662553C
	buffer_load_dword v11, s[24:27], 0 idxen lds               // 000000009580: E0512000 8006000B
	v_mfma_f32_16x16x16_f16 v[152:155], v[62:63], a[46:47], v[152:155]// 000000009588: D3CD0098 16625D3E
	s_cmp_lt_u32 s60, s58                                      // 000000009590: BF0A3A3C
	s_cselect_b32 s68, s68, 0                                  // 000000009594: 85448044
	s_cselect_b32 s100, s100, 0                                // 000000009598: 85648064
	s_cselect_b32 s69, s69, 0                                  // 00000000959C: 85458045
	v_mfma_f32_16x16x16_f16 v[152:155], v[64:65], a[50:51], v[152:155]// 0000000095A0: D3CD0098 16626540
	v_add_u32_e32 v1, s68, v1                                  // 0000000095A8: 68020244
	v_add_u32_e32 v2, s68, v2                                  // 0000000095AC: 68040444
	v_add_u32_e32 v3, s68, v3                                  // 0000000095B0: 68060644
	v_add_u32_e32 v4, s68, v4                                  // 0000000095B4: 68080844
	v_mfma_f32_16x16x16_f16 v[152:155], v[66:67], a[54:55], v[152:155]// 0000000095B8: D3CD0098 16626D42
	v_add_u32_e32 v228, s100, v228                             // 0000000095C0: 69C9C864
	v_add_u32_e32 v229, s100, v229                             // 0000000095C4: 69CBCA64
	v_add_u32_e32 v230, s100, v230                             // 0000000095C8: 69CDCC64
	v_add_u32_e32 v231, s100, v231                             // 0000000095CC: 69CFCE64
	v_mfma_f32_16x16x16_f16 v[152:155], v[68:69], a[58:59], v[152:155]// 0000000095D0: D3CD0098 16627544
	s_mov_b32 m0, s79                                          // 0000000095D8: BEFC004F
	v_add_u32_e32 v11, s69, v11                                // 0000000095DC: 68161645
	v_mfma_f32_16x16x16_f16 v[152:155], v[70:71], a[62:63], v[152:155]// 0000000095E0: D3CD0098 16627D46
	s_cmp_ge_u32 s59, s73                                      // 0000000095E8: BF09493B
	s_cselect_b32 s66, s67, s66                                // 0000000095EC: 85424243
	v_mfma_f32_16x16x16_f16 v[152:155], v[72:73], a[66:67], v[152:155]// 0000000095F0: D3CD0098 16628548
	s_addk_i32 s59, 0x20                                       // 0000000095F8: B73B0020
	s_nop 0                                                    // 0000000095FC: BF800000
	s_cmp_lt_i32 s59, s58                                      // 000000009600: BF043A3B
	v_mfma_f32_16x16x16_f16 v[152:155], v[74:75], a[70:71], v[152:155]// 000000009604: D3CD0098 16628D4A
	s_cbranch_scc0 label_0E0B                                  // 00000000960C: BF84F875
	s_branch label_0E0E                                        // 000000009610: BF82F877

0000000000009614 <label_15A9>:
	buffer_atomic_add_f32 v160, v8, s[32:35], 0 idxen          // 000000009614: E1342000 8008A008
	buffer_atomic_add_f32 v161, v9, s[32:35], 0 idxen          // 00000000961C: E1342000 8008A109
	buffer_atomic_add_f32 v162, v8, s[32:35], 0 idxen offset:128// 000000009624: E1342080 8008A208
	buffer_atomic_add_f32 v163, v9, s[32:35], 0 idxen offset:128// 00000000962C: E1342080 8008A309
	v_add_u32_e32 v6, s66, v6                                  // 000000009634: 680C0C42
	v_add_u32_e32 v7, s66, v7                                  // 000000009638: 680E0E42
	v_add_u32_e32 v8, s66, v8                                  // 00000000963C: 68101042
	v_add_u32_e32 v9, s66, v9                                  // 000000009640: 68121242
	v_lshrrev_b32_e32 v32, 5, v0                               // 000000009644: 20400085
	v_mul_i32_i24_e32 v27, 0x44, v32                           // 000000009648: 0C3640FF 00000044
	v_and_b32_e32 v32, 31, v0                                  // 000000009650: 2640009F
	v_mul_i32_i24_e32 v33, 2, v32                              // 000000009654: 0C424082
	v_add_u32_e32 v27, v33, v27                                // 000000009658: 68363721
	s_mul_i32 s60, s46, 0x220                                  // 00000000965C: 923CFF2E 00000220
	v_add_u32_e32 v27, s60, v27                                // 000000009664: 6836363C
	v_lshlrev_b32_e32 v27, 2, v27                              // 000000009668: 24363682
	v_mul_f32_e32 v148, s47, v148                              // 00000000966C: 0B29282F
	v_mul_f32_e32 v149, s47, v149                              // 000000009670: 0B2B2A2F
	v_mul_f32_e32 v150, s47, v150                              // 000000009674: 0B2D2C2F
	v_mul_f32_e32 v151, s47, v151                              // 000000009678: 0B2F2E2F
	v_mul_f32_e32 v152, s47, v152                              // 00000000967C: 0B31302F
	v_mul_f32_e32 v153, s47, v153                              // 000000009680: 0B33322F
	v_mul_f32_e32 v154, s47, v154                              // 000000009684: 0B35342F
	v_mul_f32_e32 v155, s47, v155                              // 000000009688: 0B37362F
	ds_write_b64 v22, v[148:149] offset:31232                  // 00000000968C: D89A7A00 00009416
	ds_write_b64 v22, v[150:151] offset:31744                  // 000000009694: D89A7C00 00009616
	ds_write_b64 v22, v[152:153] offset:32256                  // 00000000969C: D89A7E00 00009816
	ds_write_b64 v22, v[154:155] offset:32768                  // 0000000096A4: D89A8000 00009A16
	s_waitcnt lgkmcnt(0)                                       // 0000000096AC: BF8CC07F
	s_barrier                                                  // 0000000096B0: BF8A0000
	ds_read_b64 v[156:157], v21 offset:31232                   // 0000000096B4: D8EC7A00 9C000015
	ds_read_b64 v[158:159], v21 offset:33280                   // 0000000096BC: D8EC8200 9E000015
	ds_read_b64 v[160:161], v21 offset:35328                   // 0000000096C4: D8EC8A00 A0000015
	ds_read_b64 v[162:163], v21 offset:37376                   // 0000000096CC: D8EC9200 A2000015
	s_waitcnt lgkmcnt(0)                                       // 0000000096D4: BF8CC07F
	s_barrier                                                  // 0000000096D8: BF8A0000
	buffer_atomic_add_f32 v156, v6, s[32:35], 0 idxen          // 0000000096DC: E1342000 80089C06
	buffer_atomic_add_f32 v157, v7, s[32:35], 0 idxen          // 0000000096E4: E1342000 80089D07
	buffer_atomic_add_f32 v158, v6, s[32:35], 0 idxen offset:128// 0000000096EC: E1342080 80089E06
	buffer_atomic_add_f32 v159, v7, s[32:35], 0 idxen offset:128// 0000000096F4: E1342080 80089F07
	buffer_atomic_add_f32 v160, v8, s[32:35], 0 idxen          // 0000000096FC: E1342000 8008A008
	buffer_atomic_add_f32 v161, v9, s[32:35], 0 idxen          // 000000009704: E1342000 8008A109
	buffer_atomic_add_f32 v162, v8, s[32:35], 0 idxen offset:128// 00000000970C: E1342080 8008A208
	buffer_atomic_add_f32 v163, v9, s[32:35], 0 idxen offset:128// 000000009714: E1342080 8008A309
	v_lshrrev_b32_e32 v32, 3, v0                               // 00000000971C: 20400083
	v_mul_i32_i24_e32 v26, 2, v32                              // 000000009720: 0C344082
	v_and_b32_e32 v32, 7, v0                                   // 000000009724: 26400087
	v_mul_i32_i24_e32 v33, 0x44, v32                           // 000000009728: 0C4240FF 00000044
	v_add_u32_e32 v26, v33, v26                                // 000000009730: 68343521
	s_mul_i32 s60, s46, 0x220                                  // 000000009734: 923CFF2E 00000220
	v_add_u32_e32 v26, s60, v26                                // 00000000973C: 6834343C
	v_lshlrev_b32_e32 v26, 2, v26                              // 000000009740: 24343482
	v_accvgpr_read_b32 v32, a112                               // 000000009744: D3D84020 18000170
	v_accvgpr_read_b32 v33, a113                               // 00000000974C: D3D84021 18000171
	v_mul_f32_e32 v32, s47, v32                                // 000000009754: 0A40402F
	v_mul_f32_e32 v33, s47, v33                                // 000000009758: 0A42422F
	v_cvt_pkrtz_f16_f32 v52, v32, v33                          // 00000000975C: D2960034 00024320
	v_accvgpr_read_b32 v32, a114                               // 000000009764: D3D84020 18000172
	v_accvgpr_read_b32 v33, a115                               // 00000000976C: D3D84021 18000173
	v_mul_f32_e32 v32, s47, v32                                // 000000009774: 0A40402F
	v_mul_f32_e32 v33, s47, v33                                // 000000009778: 0A42422F
	v_cvt_pkrtz_f16_f32 v53, v32, v33                          // 00000000977C: D2960035 00024320
	v_accvgpr_read_b32 v32, a116                               // 000000009784: D3D84020 18000174
	v_accvgpr_read_b32 v33, a117                               // 00000000978C: D3D84021 18000175
	v_mul_f32_e32 v32, s47, v32                                // 000000009794: 0A40402F
	v_mul_f32_e32 v33, s47, v33                                // 000000009798: 0A42422F
	v_cvt_pkrtz_f16_f32 v54, v32, v33                          // 00000000979C: D2960036 00024320
	v_accvgpr_read_b32 v32, a118                               // 0000000097A4: D3D84020 18000176
	v_accvgpr_read_b32 v33, a119                               // 0000000097AC: D3D84021 18000177
	v_mul_f32_e32 v32, s47, v32                                // 0000000097B4: 0A40402F
	v_mul_f32_e32 v33, s47, v33                                // 0000000097B8: 0A42422F
	v_cvt_pkrtz_f16_f32 v55, v32, v33                          // 0000000097BC: D2960037 00024320
	v_accvgpr_read_b32 v32, a120                               // 0000000097C4: D3D84020 18000178
	v_accvgpr_read_b32 v33, a121                               // 0000000097CC: D3D84021 18000179
	v_mul_f32_e32 v32, s47, v32                                // 0000000097D4: 0A40402F
	v_mul_f32_e32 v33, s47, v33                                // 0000000097D8: 0A42422F
	v_cvt_pkrtz_f16_f32 v56, v32, v33                          // 0000000097DC: D2960038 00024320
	v_accvgpr_read_b32 v32, a122                               // 0000000097E4: D3D84020 1800017A
	v_accvgpr_read_b32 v33, a123                               // 0000000097EC: D3D84021 1800017B
	v_mul_f32_e32 v32, s47, v32                                // 0000000097F4: 0A40402F
	v_mul_f32_e32 v33, s47, v33                                // 0000000097F8: 0A42422F
	v_cvt_pkrtz_f16_f32 v57, v32, v33                          // 0000000097FC: D2960039 00024320
	v_accvgpr_read_b32 v32, a124                               // 000000009804: D3D84020 1800017C
	v_accvgpr_read_b32 v33, a125                               // 00000000980C: D3D84021 1800017D
	v_mul_f32_e32 v32, s47, v32                                // 000000009814: 0A40402F
	v_mul_f32_e32 v33, s47, v33                                // 000000009818: 0A42422F
	v_cvt_pkrtz_f16_f32 v58, v32, v33                          // 00000000981C: D296003A 00024320
	v_accvgpr_read_b32 v32, a126                               // 000000009824: D3D84020 1800017E
	v_accvgpr_read_b32 v33, a127                               // 00000000982C: D3D84021 1800017F
	v_mul_f32_e32 v32, s47, v32                                // 000000009834: 0A40402F
	v_mul_f32_e32 v33, s47, v33                                // 000000009838: 0A42422F
	v_cvt_pkrtz_f16_f32 v59, v32, v33                          // 00000000983C: D296003B 00024320
	ds_write_b64 v27, v[52:53]                                 // 000000009844: D89A0000 0000341B
	ds_write_b64 v27, v[54:55] offset:544                      // 00000000984C: D89A0220 0000361B
	ds_write_b64 v27, v[56:57] offset:1088                     // 000000009854: D89A0440 0000381B
	ds_write_b64 v27, v[58:59] offset:1632                     // 00000000985C: D89A0660 00003A1B
	s_waitcnt lgkmcnt(0)                                       // 000000009864: BF8CC07F
	s_barrier                                                  // 000000009868: BF8A0000
	ds_read_b64 v[52:53], v26                                  // 00000000986C: D8EC0000 3400001A
	ds_read_b64 v[54:55], v26 offset:128                       // 000000009874: D8EC0080 3600001A
	ds_read_b64 v[56:57], v26 offset:64                        // 00000000987C: D8EC0040 3800001A
	ds_read_b64 v[58:59], v26 offset:192                       // 000000009884: D8EC00C0 3A00001A
	s_waitcnt lgkmcnt(0)                                       // 00000000988C: BF8CC07F
	s_mov_b32 s70, s52                                         // 000000009890: BEC60034
	buffer_store_dwordx4 v[52:55], v5, s[36:39], 0 idxen       // 000000009894: E07C2000 80093405
	s_mul_i32 s60, 2, s70                                      // 00000000989C: 923C4682
	v_add_u32_e32 v5, s60, v5                                  // 0000000098A0: 680A0A3C
	buffer_store_dwordx4 v[56:59], v5, s[36:39], 0 idxen       // 0000000098A4: E07C2000 80093805
	s_mul_i32 s60, 2, s70                                      // 0000000098AC: 923C4682
	v_add_u32_e32 v5, s60, v5                                  // 0000000098B0: 680A0A3C
	s_mul_i32 s60, 12, s70                                     // 0000000098B4: 923C468C
	v_add_u32_e32 v5, s60, v5                                  // 0000000098B8: 680A0A3C
	s_barrier                                                  // 0000000098BC: BF8A0000
	s_cmp_ge_i32 1, s72                                        // 0000000098C0: BF034881
	s_cbranch_scc1 label_1718                                  // 0000000098C4: BF8500C2
	v_accvgpr_read_b32 v32, a128                               // 0000000098C8: D3D84020 18000180
	v_accvgpr_read_b32 v33, a129                               // 0000000098D0: D3D84021 18000181
	v_mul_f32_e32 v32, s47, v32                                // 0000000098D8: 0A40402F
	v_mul_f32_e32 v33, s47, v33                                // 0000000098DC: 0A42422F
	v_cvt_pkrtz_f16_f32 v60, v32, v33                          // 0000000098E0: D296003C 00024320
	v_accvgpr_read_b32 v32, a130                               // 0000000098E8: D3D84020 18000182
	v_accvgpr_read_b32 v33, a131                               // 0000000098F0: D3D84021 18000183
	v_mul_f32_e32 v32, s47, v32                                // 0000000098F8: 0A40402F
	v_mul_f32_e32 v33, s47, v33                                // 0000000098FC: 0A42422F
	v_cvt_pkrtz_f16_f32 v61, v32, v33                          // 000000009900: D296003D 00024320
	v_accvgpr_read_b32 v32, a132                               // 000000009908: D3D84020 18000184
	v_accvgpr_read_b32 v33, a133                               // 000000009910: D3D84021 18000185
	v_mul_f32_e32 v32, s47, v32                                // 000000009918: 0A40402F
	v_mul_f32_e32 v33, s47, v33                                // 00000000991C: 0A42422F
	v_cvt_pkrtz_f16_f32 v62, v32, v33                          // 000000009920: D296003E 00024320
	v_accvgpr_read_b32 v32, a134                               // 000000009928: D3D84020 18000186
	v_accvgpr_read_b32 v33, a135                               // 000000009930: D3D84021 18000187
	v_mul_f32_e32 v32, s47, v32                                // 000000009938: 0A40402F
	v_mul_f32_e32 v33, s47, v33                                // 00000000993C: 0A42422F
	v_cvt_pkrtz_f16_f32 v63, v32, v33                          // 000000009940: D296003F 00024320
	v_accvgpr_read_b32 v32, a136                               // 000000009948: D3D84020 18000188
	v_accvgpr_read_b32 v33, a137                               // 000000009950: D3D84021 18000189
	v_mul_f32_e32 v32, s47, v32                                // 000000009958: 0A40402F
	v_mul_f32_e32 v33, s47, v33                                // 00000000995C: 0A42422F
	v_cvt_pkrtz_f16_f32 v64, v32, v33                          // 000000009960: D2960040 00024320
	v_accvgpr_read_b32 v32, a138                               // 000000009968: D3D84020 1800018A
	v_accvgpr_read_b32 v33, a139                               // 000000009970: D3D84021 1800018B
	v_mul_f32_e32 v32, s47, v32                                // 000000009978: 0A40402F
	v_mul_f32_e32 v33, s47, v33                                // 00000000997C: 0A42422F
	v_cvt_pkrtz_f16_f32 v65, v32, v33                          // 000000009980: D2960041 00024320
	v_accvgpr_read_b32 v32, a140                               // 000000009988: D3D84020 1800018C
	v_accvgpr_read_b32 v33, a141                               // 000000009990: D3D84021 1800018D
	v_mul_f32_e32 v32, s47, v32                                // 000000009998: 0A40402F
	v_mul_f32_e32 v33, s47, v33                                // 00000000999C: 0A42422F
	v_cvt_pkrtz_f16_f32 v66, v32, v33                          // 0000000099A0: D2960042 00024320
	v_accvgpr_read_b32 v32, a142                               // 0000000099A8: D3D84020 1800018E
	v_accvgpr_read_b32 v33, a143                               // 0000000099B0: D3D84021 1800018F
	v_mul_f32_e32 v32, s47, v32                                // 0000000099B8: 0A40402F
	v_mul_f32_e32 v33, s47, v33                                // 0000000099BC: 0A42422F
	v_cvt_pkrtz_f16_f32 v67, v32, v33                          // 0000000099C0: D2960043 00024320
	ds_write_b64 v27, v[60:61] offset:8704                     // 0000000099C8: D89A2200 00003C1B
	ds_write_b64 v27, v[62:63] offset:9248                     // 0000000099D0: D89A2420 00003E1B
	ds_write_b64 v27, v[64:65] offset:9792                     // 0000000099D8: D89A2640 0000401B
	ds_write_b64 v27, v[66:67] offset:10336                    // 0000000099E0: D89A2860 0000421B
	s_waitcnt lgkmcnt(0)                                       // 0000000099E8: BF8CC07F
	s_barrier                                                  // 0000000099EC: BF8A0000
	ds_read_b64 v[60:61], v26 offset:8704                      // 0000000099F0: D8EC2200 3C00001A
	ds_read_b64 v[62:63], v26 offset:8832                      // 0000000099F8: D8EC2280 3E00001A
	ds_read_b64 v[64:65], v26 offset:8768                      // 000000009A00: D8EC2240 4000001A
	ds_read_b64 v[66:67], v26 offset:8896                      // 000000009A08: D8EC22C0 4200001A
	s_waitcnt lgkmcnt(0)                                       // 000000009A10: BF8CC07F
	s_mov_b32 s70, s52                                         // 000000009A14: BEC60034
	buffer_store_dwordx4 v[60:63], v5, s[36:39], 0 idxen       // 000000009A18: E07C2000 80093C05
	s_mul_i32 s60, 2, s70                                      // 000000009A20: 923C4682
	v_add_u32_e32 v5, s60, v5                                  // 000000009A24: 680A0A3C
	buffer_store_dwordx4 v[64:67], v5, s[36:39], 0 idxen       // 000000009A28: E07C2000 80094005
	s_mul_i32 s60, 2, s70                                      // 000000009A30: 923C4682
	v_add_u32_e32 v5, s60, v5                                  // 000000009A34: 680A0A3C
	s_mul_i32 s60, 12, s70                                     // 000000009A38: 923C468C
	v_add_u32_e32 v5, s60, v5                                  // 000000009A3C: 680A0A3C
	s_barrier                                                  // 000000009A40: BF8A0000
	s_cmp_ge_i32 2, s72                                        // 000000009A44: BF034882
	s_cbranch_scc1 label_1718                                  // 000000009A48: BF850061
	v_accvgpr_read_b32 v32, a144                               // 000000009A4C: D3D84020 18000190
	v_accvgpr_read_b32 v33, a145                               // 000000009A54: D3D84021 18000191
	v_mul_f32_e32 v32, s47, v32                                // 000000009A5C: 0A40402F
	v_mul_f32_e32 v33, s47, v33                                // 000000009A60: 0A42422F
	v_cvt_pkrtz_f16_f32 v68, v32, v33                          // 000000009A64: D2960044 00024320
	v_accvgpr_read_b32 v32, a146                               // 000000009A6C: D3D84020 18000192
	v_accvgpr_read_b32 v33, a147                               // 000000009A74: D3D84021 18000193
	v_mul_f32_e32 v32, s47, v32                                // 000000009A7C: 0A40402F
	v_mul_f32_e32 v33, s47, v33                                // 000000009A80: 0A42422F
	v_cvt_pkrtz_f16_f32 v69, v32, v33                          // 000000009A84: D2960045 00024320
	v_accvgpr_read_b32 v32, a148                               // 000000009A8C: D3D84020 18000194
	v_accvgpr_read_b32 v33, a149                               // 000000009A94: D3D84021 18000195
	v_mul_f32_e32 v32, s47, v32                                // 000000009A9C: 0A40402F
	v_mul_f32_e32 v33, s47, v33                                // 000000009AA0: 0A42422F
	v_cvt_pkrtz_f16_f32 v70, v32, v33                          // 000000009AA4: D2960046 00024320
	v_accvgpr_read_b32 v32, a150                               // 000000009AAC: D3D84020 18000196
	v_accvgpr_read_b32 v33, a151                               // 000000009AB4: D3D84021 18000197
	v_mul_f32_e32 v32, s47, v32                                // 000000009ABC: 0A40402F
	v_mul_f32_e32 v33, s47, v33                                // 000000009AC0: 0A42422F
	v_cvt_pkrtz_f16_f32 v71, v32, v33                          // 000000009AC4: D2960047 00024320
	v_accvgpr_read_b32 v32, a152                               // 000000009ACC: D3D84020 18000198
	v_accvgpr_read_b32 v33, a153                               // 000000009AD4: D3D84021 18000199
	v_mul_f32_e32 v32, s47, v32                                // 000000009ADC: 0A40402F
	v_mul_f32_e32 v33, s47, v33                                // 000000009AE0: 0A42422F
	v_cvt_pkrtz_f16_f32 v72, v32, v33                          // 000000009AE4: D2960048 00024320
	v_accvgpr_read_b32 v32, a154                               // 000000009AEC: D3D84020 1800019A
	v_accvgpr_read_b32 v33, a155                               // 000000009AF4: D3D84021 1800019B
	v_mul_f32_e32 v32, s47, v32                                // 000000009AFC: 0A40402F
	v_mul_f32_e32 v33, s47, v33                                // 000000009B00: 0A42422F
	v_cvt_pkrtz_f16_f32 v73, v32, v33                          // 000000009B04: D2960049 00024320
	v_accvgpr_read_b32 v32, a156                               // 000000009B0C: D3D84020 1800019C
	v_accvgpr_read_b32 v33, a157                               // 000000009B14: D3D84021 1800019D
	v_mul_f32_e32 v32, s47, v32                                // 000000009B1C: 0A40402F
	v_mul_f32_e32 v33, s47, v33                                // 000000009B20: 0A42422F
	v_cvt_pkrtz_f16_f32 v74, v32, v33                          // 000000009B24: D296004A 00024320
	v_accvgpr_read_b32 v32, a158                               // 000000009B2C: D3D84020 1800019E
	v_accvgpr_read_b32 v33, a159                               // 000000009B34: D3D84021 1800019F
	v_mul_f32_e32 v32, s47, v32                                // 000000009B3C: 0A40402F
	v_mul_f32_e32 v33, s47, v33                                // 000000009B40: 0A42422F
	v_cvt_pkrtz_f16_f32 v75, v32, v33                          // 000000009B44: D296004B 00024320
	ds_write_b64 v27, v[68:69] offset:17408                    // 000000009B4C: D89A4400 0000441B
	ds_write_b64 v27, v[70:71] offset:17952                    // 000000009B54: D89A4620 0000461B
	ds_write_b64 v27, v[72:73] offset:18496                    // 000000009B5C: D89A4840 0000481B
	ds_write_b64 v27, v[74:75] offset:19040                    // 000000009B64: D89A4A60 00004A1B
	s_waitcnt lgkmcnt(0)                                       // 000000009B6C: BF8CC07F
	s_barrier                                                  // 000000009B70: BF8A0000
	ds_read_b64 v[68:69], v26 offset:17408                     // 000000009B74: D8EC4400 4400001A
	ds_read_b64 v[70:71], v26 offset:17536                     // 000000009B7C: D8EC4480 4600001A
	ds_read_b64 v[72:73], v26 offset:17472                     // 000000009B84: D8EC4440 4800001A
	ds_read_b64 v[74:75], v26 offset:17600                     // 000000009B8C: D8EC44C0 4A00001A
	s_waitcnt lgkmcnt(0)                                       // 000000009B94: BF8CC07F
	s_mov_b32 s70, s52                                         // 000000009B98: BEC60034
	buffer_store_dwordx4 v[68:71], v5, s[36:39], 0 idxen       // 000000009B9C: E07C2000 80094405
	s_mul_i32 s60, 2, s70                                      // 000000009BA4: 923C4682
	v_add_u32_e32 v5, s60, v5                                  // 000000009BA8: 680A0A3C
	buffer_store_dwordx4 v[72:75], v5, s[36:39], 0 idxen       // 000000009BAC: E07C2000 80094805
	s_mul_i32 s60, 2, s70                                      // 000000009BB4: 923C4682
	v_add_u32_e32 v5, s60, v5                                  // 000000009BB8: 680A0A3C
	s_mul_i32 s60, 12, s70                                     // 000000009BBC: 923C468C
	v_add_u32_e32 v5, s60, v5                                  // 000000009BC0: 680A0A3C
	s_barrier                                                  // 000000009BC4: BF8A0000
	s_cmp_ge_i32 3, s72                                        // 000000009BC8: BF034883
	s_cbranch_scc1 label_1718                                  // 000000009BCC: BF850000

0000000000009bd0 <label_1718>:
	v_mov_b32_e32 v32, v180                                    // 000000009BD0: 7E4003B4
	v_mov_b32_e32 v33, v181                                    // 000000009BD4: 7E4203B5
	v_cvt_pkrtz_f16_f32 v180, v32, v33                         // 000000009BD8: D29600B4 00024320
	v_mov_b32_e32 v32, v182                                    // 000000009BE0: 7E4003B6
	v_mov_b32_e32 v33, v183                                    // 000000009BE4: 7E4203B7
	v_cvt_pkrtz_f16_f32 v181, v32, v33                         // 000000009BE8: D29600B5 00024320
	v_mov_b32_e32 v32, v184                                    // 000000009BF0: 7E4003B8
	v_mov_b32_e32 v33, v185                                    // 000000009BF4: 7E4203B9
	v_cvt_pkrtz_f16_f32 v182, v32, v33                         // 000000009BF8: D29600B6 00024320
	v_mov_b32_e32 v32, v186                                    // 000000009C00: 7E4003BA
	v_mov_b32_e32 v33, v187                                    // 000000009C04: 7E4203BB
	v_cvt_pkrtz_f16_f32 v183, v32, v33                         // 000000009C08: D29600B7 00024320
	v_mov_b32_e32 v32, v188                                    // 000000009C10: 7E4003BC
	v_mov_b32_e32 v33, v189                                    // 000000009C14: 7E4203BD
	v_cvt_pkrtz_f16_f32 v184, v32, v33                         // 000000009C18: D29600B8 00024320
	v_mov_b32_e32 v32, v190                                    // 000000009C20: 7E4003BE
	v_mov_b32_e32 v33, v191                                    // 000000009C24: 7E4203BF
	v_cvt_pkrtz_f16_f32 v185, v32, v33                         // 000000009C28: D29600B9 00024320
	v_mov_b32_e32 v32, v192                                    // 000000009C30: 7E4003C0
	v_mov_b32_e32 v33, v193                                    // 000000009C34: 7E4203C1
	v_cvt_pkrtz_f16_f32 v186, v32, v33                         // 000000009C38: D29600BA 00024320
	v_mov_b32_e32 v32, v194                                    // 000000009C40: 7E4003C2
	v_mov_b32_e32 v33, v195                                    // 000000009C44: 7E4203C3
	v_cvt_pkrtz_f16_f32 v187, v32, v33                         // 000000009C48: D29600BB 00024320
	ds_write_b64 v27, v[180:181]                               // 000000009C50: D89A0000 0000B41B
	ds_write_b64 v27, v[182:183] offset:544                    // 000000009C58: D89A0220 0000B61B
	ds_write_b64 v27, v[184:185] offset:1088                   // 000000009C60: D89A0440 0000B81B
	ds_write_b64 v27, v[186:187] offset:1632                   // 000000009C68: D89A0660 0000BA1B
	s_waitcnt lgkmcnt(0)                                       // 000000009C70: BF8CC07F
	s_barrier                                                  // 000000009C74: BF8A0000
	ds_read_b64 v[180:181], v26                                // 000000009C78: D8EC0000 B400001A
	ds_read_b64 v[182:183], v26 offset:128                     // 000000009C80: D8EC0080 B600001A
	ds_read_b64 v[184:185], v26 offset:64                      // 000000009C88: D8EC0040 B800001A
	ds_read_b64 v[186:187], v26 offset:192                     // 000000009C90: D8EC00C0 BA00001A
	s_waitcnt lgkmcnt(0)                                       // 000000009C98: BF8CC07F
	s_mov_b32 s70, s53                                         // 000000009C9C: BEC60035
	buffer_store_dwordx4 v[180:183], v10, s[40:43], 0 idxen    // 000000009CA0: E07C2000 800AB40A
	s_mul_i32 s60, 2, s70                                      // 000000009CA8: 923C4682
	v_add_u32_e32 v10, s60, v10                                // 000000009CAC: 6814143C
	buffer_store_dwordx4 v[184:187], v10, s[40:43], 0 idxen    // 000000009CB0: E07C2000 800AB80A
	s_mul_i32 s60, 2, s70                                      // 000000009CB8: 923C4682
	v_add_u32_e32 v10, s60, v10                                // 000000009CBC: 6814143C
	s_mul_i32 s60, 12, s70                                     // 000000009CC0: 923C468C
	v_add_u32_e32 v10, s60, v10                                // 000000009CC4: 6814143C
	s_cmp_ge_i32 1, s72                                        // 000000009CC8: BF034881
	s_cbranch_scc1 label_17D8                                  // 000000009CCC: BF850080
	v_mov_b32_e32 v32, v196                                    // 000000009CD0: 7E4003C4
	v_mov_b32_e32 v33, v197                                    // 000000009CD4: 7E4203C5
	v_cvt_pkrtz_f16_f32 v188, v32, v33                         // 000000009CD8: D29600BC 00024320
	v_mov_b32_e32 v32, v198                                    // 000000009CE0: 7E4003C6
	v_mov_b32_e32 v33, v199                                    // 000000009CE4: 7E4203C7
	v_cvt_pkrtz_f16_f32 v189, v32, v33                         // 000000009CE8: D29600BD 00024320
	v_mov_b32_e32 v32, v200                                    // 000000009CF0: 7E4003C8
	v_mov_b32_e32 v33, v201                                    // 000000009CF4: 7E4203C9
	v_cvt_pkrtz_f16_f32 v190, v32, v33                         // 000000009CF8: D29600BE 00024320
	v_mov_b32_e32 v32, v202                                    // 000000009D00: 7E4003CA
	v_mov_b32_e32 v33, v203                                    // 000000009D04: 7E4203CB
	v_cvt_pkrtz_f16_f32 v191, v32, v33                         // 000000009D08: D29600BF 00024320
	v_mov_b32_e32 v32, v204                                    // 000000009D10: 7E4003CC
	v_mov_b32_e32 v33, v205                                    // 000000009D14: 7E4203CD
	v_cvt_pkrtz_f16_f32 v192, v32, v33                         // 000000009D18: D29600C0 00024320
	v_mov_b32_e32 v32, v206                                    // 000000009D20: 7E4003CE
	v_mov_b32_e32 v33, v207                                    // 000000009D24: 7E4203CF
	v_cvt_pkrtz_f16_f32 v193, v32, v33                         // 000000009D28: D29600C1 00024320
	v_mov_b32_e32 v32, v208                                    // 000000009D30: 7E4003D0
	v_mov_b32_e32 v33, v209                                    // 000000009D34: 7E4203D1
	v_cvt_pkrtz_f16_f32 v194, v32, v33                         // 000000009D38: D29600C2 00024320
	v_mov_b32_e32 v32, v210                                    // 000000009D40: 7E4003D2
	v_mov_b32_e32 v33, v211                                    // 000000009D44: 7E4203D3
	v_cvt_pkrtz_f16_f32 v195, v32, v33                         // 000000009D48: D29600C3 00024320
	ds_write_b64 v27, v[188:189] offset:8704                   // 000000009D50: D89A2200 0000BC1B
	ds_write_b64 v27, v[190:191] offset:9248                   // 000000009D58: D89A2420 0000BE1B
	ds_write_b64 v27, v[192:193] offset:9792                   // 000000009D60: D89A2640 0000C01B
	ds_write_b64 v27, v[194:195] offset:10336                  // 000000009D68: D89A2860 0000C21B
	s_waitcnt lgkmcnt(0)                                       // 000000009D70: BF8CC07F
	s_barrier                                                  // 000000009D74: BF8A0000
	ds_read_b64 v[188:189], v26 offset:8704                    // 000000009D78: D8EC2200 BC00001A
	ds_read_b64 v[190:191], v26 offset:8832                    // 000000009D80: D8EC2280 BE00001A
	ds_read_b64 v[192:193], v26 offset:8768                    // 000000009D88: D8EC2240 C000001A
	ds_read_b64 v[194:195], v26 offset:8896                    // 000000009D90: D8EC22C0 C200001A
	s_waitcnt lgkmcnt(0)                                       // 000000009D98: BF8CC07F
	s_mov_b32 s70, s53                                         // 000000009D9C: BEC60035
	buffer_store_dwordx4 v[188:191], v10, s[40:43], 0 idxen    // 000000009DA0: E07C2000 800ABC0A
	s_mul_i32 s60, 2, s70                                      // 000000009DA8: 923C4682
	v_add_u32_e32 v10, s60, v10                                // 000000009DAC: 6814143C
	buffer_store_dwordx4 v[192:195], v10, s[40:43], 0 idxen    // 000000009DB0: E07C2000 800AC00A
	s_mul_i32 s60, 2, s70                                      // 000000009DB8: 923C4682
	v_add_u32_e32 v10, s60, v10                                // 000000009DBC: 6814143C
	s_mul_i32 s60, 12, s70                                     // 000000009DC0: 923C468C
	v_add_u32_e32 v10, s60, v10                                // 000000009DC4: 6814143C
	s_cmp_ge_i32 2, s72                                        // 000000009DC8: BF034882
	s_cbranch_scc1 label_17D8                                  // 000000009DCC: BF850040
	v_mov_b32_e32 v32, v212                                    // 000000009DD0: 7E4003D4
	v_mov_b32_e32 v33, v213                                    // 000000009DD4: 7E4203D5
	v_cvt_pkrtz_f16_f32 v196, v32, v33                         // 000000009DD8: D29600C4 00024320
	v_mov_b32_e32 v32, v214                                    // 000000009DE0: 7E4003D6
	v_mov_b32_e32 v33, v215                                    // 000000009DE4: 7E4203D7
	v_cvt_pkrtz_f16_f32 v197, v32, v33                         // 000000009DE8: D29600C5 00024320
	v_mov_b32_e32 v32, v216                                    // 000000009DF0: 7E4003D8
	v_mov_b32_e32 v33, v217                                    // 000000009DF4: 7E4203D9
	v_cvt_pkrtz_f16_f32 v198, v32, v33                         // 000000009DF8: D29600C6 00024320
	v_mov_b32_e32 v32, v218                                    // 000000009E00: 7E4003DA
	v_mov_b32_e32 v33, v219                                    // 000000009E04: 7E4203DB
	v_cvt_pkrtz_f16_f32 v199, v32, v33                         // 000000009E08: D29600C7 00024320
	v_mov_b32_e32 v32, v220                                    // 000000009E10: 7E4003DC
	v_mov_b32_e32 v33, v221                                    // 000000009E14: 7E4203DD
	v_cvt_pkrtz_f16_f32 v200, v32, v33                         // 000000009E18: D29600C8 00024320
	v_mov_b32_e32 v32, v222                                    // 000000009E20: 7E4003DE
	v_mov_b32_e32 v33, v223                                    // 000000009E24: 7E4203DF
	v_cvt_pkrtz_f16_f32 v201, v32, v33                         // 000000009E28: D29600C9 00024320
	v_mov_b32_e32 v32, v224                                    // 000000009E30: 7E4003E0
	v_mov_b32_e32 v33, v225                                    // 000000009E34: 7E4203E1
	v_cvt_pkrtz_f16_f32 v202, v32, v33                         // 000000009E38: D29600CA 00024320
	v_mov_b32_e32 v32, v226                                    // 000000009E40: 7E4003E2
	v_mov_b32_e32 v33, v227                                    // 000000009E44: 7E4203E3
	v_cvt_pkrtz_f16_f32 v203, v32, v33                         // 000000009E48: D29600CB 00024320
	ds_write_b64 v27, v[196:197] offset:17408                  // 000000009E50: D89A4400 0000C41B
	ds_write_b64 v27, v[198:199] offset:17952                  // 000000009E58: D89A4620 0000C61B
	ds_write_b64 v27, v[200:201] offset:18496                  // 000000009E60: D89A4840 0000C81B
	ds_write_b64 v27, v[202:203] offset:19040                  // 000000009E68: D89A4A60 0000CA1B
	s_waitcnt lgkmcnt(0)                                       // 000000009E70: BF8CC07F
	s_barrier                                                  // 000000009E74: BF8A0000
	ds_read_b64 v[196:197], v26 offset:17408                   // 000000009E78: D8EC4400 C400001A
	ds_read_b64 v[198:199], v26 offset:17536                   // 000000009E80: D8EC4480 C600001A
	ds_read_b64 v[200:201], v26 offset:17472                   // 000000009E88: D8EC4440 C800001A
	ds_read_b64 v[202:203], v26 offset:17600                   // 000000009E90: D8EC44C0 CA00001A
	s_waitcnt lgkmcnt(0)                                       // 000000009E98: BF8CC07F
	s_mov_b32 s70, s53                                         // 000000009E9C: BEC60035
	buffer_store_dwordx4 v[196:199], v10, s[40:43], 0 idxen    // 000000009EA0: E07C2000 800AC40A
	s_mul_i32 s60, 2, s70                                      // 000000009EA8: 923C4682
	v_add_u32_e32 v10, s60, v10                                // 000000009EAC: 6814143C
	buffer_store_dwordx4 v[200:203], v10, s[40:43], 0 idxen    // 000000009EB0: E07C2000 800AC80A
	s_mul_i32 s60, 2, s70                                      // 000000009EB8: 923C4682
	v_add_u32_e32 v10, s60, v10                                // 000000009EBC: 6814143C
	s_mul_i32 s60, 12, s70                                     // 000000009EC0: 923C468C
	v_add_u32_e32 v10, s60, v10                                // 000000009EC4: 6814143C
	s_cmp_ge_i32 3, s72                                        // 000000009EC8: BF034883
	s_cbranch_scc1 label_17D8                                  // 000000009ECC: BF850000

0000000000009ed0 <label_17D8>:
	s_waitcnt vmcnt(0) expcnt(0) lgkmcnt(0)                    // 000000009ED0: BF8C0000
	s_sub_i32 s60, s77, 1                                      // 000000009ED4: 81BC814D
	s_sub_i32 s2, s60, s2                                      // 000000009ED8: 8182023C
	s_addk_i32 s75, 0x1                                        // 000000009EDC: B74B0001
	s_cmp_lt_i32 s75, s76                                      // 000000009EE0: BF044C4B
	s_cbranch_scc1 label_015D                                  // 000000009EE4: BF85E9A3

0000000000009ee8 <label_17DE>:
	s_waitcnt vmcnt(0) expcnt(0) lgkmcnt(0)                    // 000000009EE8: BF8C0000
	s_endpgm                                                   // 000000009EEC: BF810000
